;; amdgpu-corpus repo=ROCm/rocFFT kind=compiled arch=gfx1201 opt=O3
	.text
	.amdgcn_target "amdgcn-amd-amdhsa--gfx1201"
	.amdhsa_code_object_version 6
	.protected	bluestein_single_back_len2187_dim1_sp_op_CI_CI ; -- Begin function bluestein_single_back_len2187_dim1_sp_op_CI_CI
	.globl	bluestein_single_back_len2187_dim1_sp_op_CI_CI
	.p2align	8
	.type	bluestein_single_back_len2187_dim1_sp_op_CI_CI,@function
bluestein_single_back_len2187_dim1_sp_op_CI_CI: ; @bluestein_single_back_len2187_dim1_sp_op_CI_CI
; %bb.0:
	s_load_b128 s[16:19], s[0:1], 0x28
	v_mul_u32_u24_e32 v1, 0x10e, v0
	s_mov_b32 s2, exec_lo
	v_mov_b32_e32 v69, 0
	s_delay_alu instid0(VALU_DEP_2) | instskip(NEXT) | instid1(VALU_DEP_1)
	v_lshrrev_b32_e32 v1, 16, v1
	v_add_nc_u32_e32 v68, ttmp9, v1
	s_wait_kmcnt 0x0
	s_delay_alu instid0(VALU_DEP_1)
	v_cmpx_gt_u64_e64 s[16:17], v[68:69]
	s_cbranch_execz .LBB0_2
; %bb.1:
	s_clause 0x1
	s_load_b128 s[4:7], s[0:1], 0x18
	s_load_b128 s[8:11], s[0:1], 0x0
	v_mul_lo_u16 v1, 0xf3, v1
	s_load_b64 s[0:1], s[0:1], 0x38
	s_delay_alu instid0(VALU_DEP_1) | instskip(NEXT) | instid1(VALU_DEP_1)
	v_sub_nc_u16 v36, v0, v1
	v_and_b32_e32 v87, 0xffff, v36
	v_mul_lo_u16 v18, v36, 3
	s_delay_alu instid0(VALU_DEP_2) | instskip(NEXT) | instid1(VALU_DEP_2)
	v_lshlrev_b32_e32 v88, 3, v87
	v_and_b32_e32 v18, 0xffff, v18
	s_wait_kmcnt 0x0
	s_load_b128 s[12:15], s[4:5], 0x0
	s_clause 0x1
	global_load_b64 v[69:70], v88, s[8:9]
	global_load_b64 v[71:72], v88, s[8:9] offset:5832
	v_lshlrev_b32_e32 v93, 3, v18
	s_wait_kmcnt 0x0
	v_mad_co_u64_u32 v[0:1], null, s14, v68, 0
	v_mad_co_u64_u32 v[2:3], null, s12, v87, 0
	s_mul_u64 s[2:3], s[12:13], 0x16c8
	s_mul_i32 s4, s13, 0xffffda08
	s_delay_alu instid0(SALU_CYCLE_1) | instskip(NEXT) | instid1(VALU_DEP_1)
	s_sub_co_i32 s4, s4, s12
	v_mad_co_u64_u32 v[4:5], null, s15, v68, v[1:2]
	s_delay_alu instid0(VALU_DEP_1) | instskip(SKIP_1) | instid1(VALU_DEP_1)
	v_mad_co_u64_u32 v[5:6], null, s13, v87, v[3:4]
	v_mov_b32_e32 v1, v4
	v_lshlrev_b64_e32 v[0:1], 3, v[0:1]
	s_delay_alu instid0(VALU_DEP_3) | instskip(NEXT) | instid1(VALU_DEP_1)
	v_mov_b32_e32 v3, v5
	v_lshlrev_b64_e32 v[2:3], 3, v[2:3]
	s_delay_alu instid0(VALU_DEP_3) | instskip(NEXT) | instid1(VALU_DEP_4)
	v_add_co_u32 v0, vcc_lo, s18, v0
	v_add_co_ci_u32_e32 v1, vcc_lo, s19, v1, vcc_lo
	s_delay_alu instid0(VALU_DEP_2) | instskip(SKIP_1) | instid1(VALU_DEP_2)
	v_add_co_u32 v0, vcc_lo, v0, v2
	s_wait_alu 0xfffd
	v_add_co_ci_u32_e32 v1, vcc_lo, v1, v3, vcc_lo
	s_delay_alu instid0(VALU_DEP_2) | instskip(SKIP_1) | instid1(VALU_DEP_2)
	v_add_co_u32 v2, vcc_lo, v0, s2
	s_wait_alu 0xfffd
	v_add_co_ci_u32_e32 v3, vcc_lo, s3, v1, vcc_lo
	global_load_b64 v[0:1], v[0:1], off
	v_add_co_u32 v4, vcc_lo, v2, s2
	s_wait_alu 0xfffd
	v_add_co_ci_u32_e32 v5, vcc_lo, s3, v3, vcc_lo
	s_delay_alu instid0(VALU_DEP_1)
	v_mad_co_u64_u32 v[6:7], null, 0xffffda08, s12, v[4:5]
	global_load_b64 v[2:3], v[2:3], off
	global_load_b64 v[73:74], v88, s[8:9] offset:11664
	global_load_b64 v[4:5], v[4:5], off
	v_add_nc_u32_e32 v92, 0x3500, v88
	v_add_nc_u32_e32 v7, s4, v7
	v_add_co_u32 v8, vcc_lo, v6, s2
	s_wait_loadcnt 0x3
	v_mul_f32_e32 v18, v1, v70
	v_add_co_u32 v52, null, 0x1e6, v87
	v_add_co_u32 v48, null, 0xf3, v87
	s_delay_alu instid0(VALU_DEP_3) | instskip(NEXT) | instid1(VALU_DEP_3)
	v_dual_fmac_f32 v18, v0, v69 :: v_dual_and_b32 v37, 0xff, v36
	v_and_b32_e32 v49, 0xffff, v52
	s_delay_alu instid0(VALU_DEP_3) | instskip(SKIP_1) | instid1(VALU_DEP_4)
	v_and_b32_e32 v38, 0xffff, v48
	v_mul_u32_u24_e32 v25, 3, v48
	v_mul_lo_u16 v19, 0xab, v37
	s_delay_alu instid0(VALU_DEP_4) | instskip(NEXT) | instid1(VALU_DEP_2)
	v_mul_u32_u24_e32 v21, 0xaaab, v49
	v_lshrrev_b16 v23, 9, v19
	s_delay_alu instid0(VALU_DEP_2) | instskip(SKIP_2) | instid1(VALU_DEP_4)
	v_lshrrev_b32_e32 v24, 17, v21
	v_mul_f32_e32 v21, v0, v70
	v_mul_u32_u24_e32 v20, 0xaaab, v38
	v_mul_lo_u16 v26, v23, 3
	s_wait_loadcnt 0x0
	v_dual_mul_f32 v0, v5, v74 :: v_dual_add_nc_u32 v91, 0xf00, v88
	v_mul_lo_u16 v27, v24, 3
	v_lshrrev_b32_e32 v22, 17, v20
	v_mul_f32_e32 v20, v3, v72
	s_delay_alu instid0(VALU_DEP_4)
	v_fmac_f32_e32 v0, v4, v73
	s_wait_alu 0xfffd
	v_add_co_ci_u32_e32 v9, vcc_lo, s3, v7, vcc_lo
	v_add_co_u32 v10, vcc_lo, v8, s2
	v_mul_lo_u16 v19, v22, 3
	s_wait_alu 0xfffd
	s_delay_alu instid0(VALU_DEP_3)
	v_add_co_ci_u32_e32 v11, vcc_lo, s3, v9, vcc_lo
	global_load_b64 v[77:78], v88, s[8:9] offset:1944
	global_load_b64 v[6:7], v[6:7], off
	s_clause 0x2
	global_load_b64 v[79:80], v88, s[8:9] offset:7776
	global_load_b64 v[75:76], v88, s[8:9] offset:13608
	;; [unrolled: 1-line block ×3, first 2 shown]
	global_load_b64 v[8:9], v[8:9], off
	v_add_nc_u32_e32 v89, 0x1e00, v88
	v_sub_nc_u16 v28, v48, v19
	v_mad_co_u64_u32 v[12:13], null, 0xffffda08, s12, v[10:11]
	global_load_b64 v[10:11], v[10:11], off
	v_fma_f32 v19, v1, v69, -v21
	v_dual_mul_f32 v1, v4, v74 :: v_dual_add_nc_u32 v90, 0x2d80, v88
	v_dual_fmac_f32 v20, v2, v71 :: v_dual_add_nc_u32 v13, s4, v13
	v_add_co_u32 v14, vcc_lo, v12, s2
	s_delay_alu instid0(VALU_DEP_3) | instskip(SKIP_1) | instid1(VALU_DEP_3)
	v_fma_f32 v1, v5, v73, -v1
	s_wait_alu 0xfffd
	v_add_co_ci_u32_e32 v15, vcc_lo, s3, v13, vcc_lo
	global_load_b64 v[12:13], v[12:13], off
	v_add_co_u32 v16, vcc_lo, v14, s2
	s_wait_alu 0xfffd
	v_add_co_ci_u32_e32 v17, vcc_lo, s3, v15, vcc_lo
	global_load_b64 v[83:84], v88, s[8:9] offset:9720
	global_load_b64 v[14:15], v[14:15], off
	global_load_b64 v[85:86], v88, s[8:9] offset:15552
	global_load_b64 v[16:17], v[16:17], off
	s_load_b128 s[4:7], s[6:7], 0x0
	s_wait_loadcnt 0x6
	v_mul_f32_e32 v5, v8, v80
	v_mul_f32_e32 v4, v9, v80
	s_delay_alu instid0(VALU_DEP_2) | instskip(SKIP_2) | instid1(VALU_DEP_3)
	v_fma_f32 v5, v9, v79, -v5
	s_wait_loadcnt 0x4
	v_mul_f32_e32 v9, v12, v82
	v_dual_mul_f32 v29, v2, v72 :: v_dual_fmac_f32 v4, v8, v79
	v_mul_f32_e32 v2, v7, v78
	v_mul_f32_e32 v8, v13, v82
	s_delay_alu instid0(VALU_DEP_4) | instskip(NEXT) | instid1(VALU_DEP_4)
	v_fma_f32 v9, v13, v81, -v9
	v_fma_f32 v21, v3, v71, -v29
	v_mul_f32_e32 v3, v6, v78
	v_fmac_f32_e32 v2, v6, v77
	s_wait_loadcnt 0x0
	v_dual_mul_f32 v6, v11, v76 :: v_dual_mul_f32 v29, v16, v86
	v_fmac_f32_e32 v8, v12, v81
	v_fma_f32 v3, v7, v77, -v3
	v_dual_mul_f32 v7, v10, v76 :: v_dual_mul_f32 v12, v17, v86
	s_delay_alu instid0(VALU_DEP_4) | instskip(SKIP_2) | instid1(VALU_DEP_4)
	v_fma_f32 v13, v17, v85, -v29
	v_mul_u32_u24_e32 v17, 3, v52
	v_fmac_f32_e32 v6, v10, v75
	v_fma_f32 v7, v11, v75, -v7
	v_mul_f32_e32 v10, v15, v84
	v_dual_mul_f32 v11, v14, v84 :: v_dual_fmac_f32 v12, v16, v85
	v_sub_nc_u16 v16, v36, v26
	s_delay_alu instid0(VALU_DEP_3) | instskip(NEXT) | instid1(VALU_DEP_3)
	v_dual_fmac_f32 v10, v14, v83 :: v_dual_lshlrev_b32 v95, 3, v17
	v_fma_f32 v11, v15, v83, -v11
	ds_store_b64 v88, v[20:21] offset:5832
	ds_store_b64 v88, v[0:1] offset:11664
	ds_store_2addr_b64 v88, v[18:19], v[2:3] offset1:243
	ds_store_b64 v88, v[8:9] offset:3888
	ds_store_2addr_b64 v89, v[4:5], v[10:11] offset0:12 offset1:255
	ds_store_2addr_b64 v92, v[6:7], v[12:13] offset0:5 offset1:248
	global_wb scope:SCOPE_SE
	s_wait_dscnt 0x0
	s_wait_kmcnt 0x0
	s_barrier_signal -1
	s_barrier_wait -1
	global_inv scope:SCOPE_SE
	ds_load_2addr_b64 v[0:3], v88 offset1:243
	ds_load_2addr_b64 v[4:7], v91 offset0:6 offset1:249
	ds_load_2addr_b64 v[8:11], v90 offset0:2 offset1:245
	;; [unrolled: 1-line block ×3, first 2 shown]
	v_and_b32_e32 v20, 0xff, v16
	ds_load_b64 v[16:17], v88 offset:15552
	v_sub_nc_u16 v18, v52, v27
	v_lshlrev_b32_e32 v96, 3, v25
	v_lshlrev_b16 v19, 1, v28
	global_wb scope:SCOPE_SE
	s_wait_dscnt 0x0
	s_barrier_signal -1
	v_lshlrev_b16 v21, 1, v18
	s_barrier_wait -1
	v_and_b32_e32 v19, 0xffff, v19
	global_inv scope:SCOPE_SE
	v_and_b32_e32 v21, 0xffff, v21
	v_dual_add_f32 v26, v0, v6 :: v_dual_lshlrev_b32 v19, 3, v19
	v_dual_add_f32 v27, v6, v8 :: v_dual_add_f32 v30, v1, v7
	v_dual_add_f32 v31, v7, v9 :: v_dual_sub_f32 v32, v6, v8
	v_sub_f32_e32 v35, v13, v11
	v_dual_add_f32 v33, v2, v12 :: v_dual_add_f32 v34, v12, v10
	v_dual_add_f32 v39, v3, v13 :: v_dual_sub_f32 v40, v12, v10
	v_dual_add_f32 v13, v13, v11 :: v_dual_add_f32 v12, v4, v14
	v_dual_add_f32 v41, v14, v16 :: v_dual_sub_f32 v42, v15, v17
	v_dual_add_f32 v43, v5, v15 :: v_dual_sub_f32 v44, v14, v16
	v_dual_add_f32 v15, v15, v17 :: v_dual_add_f32 v6, v26, v8
	v_sub_f32_e32 v29, v7, v9
	v_fma_f32 v0, -0.5, v27, v0
	v_fma_f32 v1, -0.5, v31, v1
	;; [unrolled: 1-line block ×3, first 2 shown]
	v_fmac_f32_e32 v3, -0.5, v13
	v_fma_f32 v4, -0.5, v41, v4
	v_fmac_f32_e32 v5, -0.5, v15
	v_dual_add_f32 v7, v30, v9 :: v_dual_add_f32 v8, v33, v10
	v_dual_add_f32 v9, v39, v11 :: v_dual_add_f32 v10, v12, v16
	v_fmamk_f32 v12, v29, 0x3f5db3d7, v0
	v_dual_fmamk_f32 v13, v32, 0xbf5db3d7, v1 :: v_dual_fmac_f32 v0, 0xbf5db3d7, v29
	v_dual_fmac_f32 v1, 0x3f5db3d7, v32 :: v_dual_fmamk_f32 v14, v35, 0x3f5db3d7, v2
	v_fmamk_f32 v15, v40, 0xbf5db3d7, v3
	v_lshlrev_b32_e32 v25, 4, v20
	v_dual_add_f32 v11, v43, v17 :: v_dual_fmac_f32 v2, 0xbf5db3d7, v35
	v_dual_fmac_f32 v3, 0x3f5db3d7, v40 :: v_dual_fmamk_f32 v16, v42, 0x3f5db3d7, v4
	v_dual_fmamk_f32 v17, v44, 0xbf5db3d7, v5 :: v_dual_fmac_f32 v4, 0xbf5db3d7, v42
	v_fmac_f32_e32 v5, 0x3f5db3d7, v44
	ds_store_2addr_b64 v93, v[6:7], v[12:13] offset1:1
	ds_store_b64 v93, v[0:1] offset:16
	ds_store_2addr_b64 v96, v[8:9], v[14:15] offset1:1
	ds_store_b64 v96, v[2:3] offset:16
	;; [unrolled: 2-line block ×3, first 2 shown]
	v_lshlrev_b32_e32 v8, 3, v21
	global_wb scope:SCOPE_SE
	s_wait_dscnt 0x0
	s_barrier_signal -1
	s_barrier_wait -1
	global_inv scope:SCOPE_SE
	s_clause 0x2
	global_load_b128 v[0:3], v25, s[10:11]
	global_load_b128 v[4:7], v19, s[10:11]
	;; [unrolled: 1-line block ×3, first 2 shown]
	v_mul_lo_u16 v8, v37, 57
	v_mul_u32_u24_e32 v9, 0xe38f, v49
	v_mad_u16 v16, v22, 9, v28
	ds_load_b64 v[28:29], v88 offset:15552
	v_lshrrev_b16 v32, 9, v8
	v_mul_u32_u24_e32 v8, 0xe38f, v38
	v_lshrrev_b32_e32 v34, 19, v9
	v_and_b32_e32 v26, 0xffff, v16
	s_delay_alu instid0(VALU_DEP_4) | instskip(NEXT) | instid1(VALU_DEP_4)
	v_mul_lo_u16 v10, v32, 9
	v_lshrrev_b32_e32 v33, 19, v8
	v_and_b32_e32 v8, 0xffff, v23
	v_mul_lo_u16 v11, v34, 9
	s_delay_alu instid0(VALU_DEP_4) | instskip(NEXT) | instid1(VALU_DEP_4)
	v_sub_nc_u16 v9, v36, v10
	v_mul_lo_u16 v10, v33, 9
	s_delay_alu instid0(VALU_DEP_4) | instskip(NEXT) | instid1(VALU_DEP_4)
	v_mul_u32_u24_e32 v8, 9, v8
	v_sub_nc_u16 v40, v52, v11
	s_delay_alu instid0(VALU_DEP_3) | instskip(NEXT) | instid1(VALU_DEP_3)
	v_sub_nc_u16 v39, v48, v10
	v_add_lshl_u32 v94, v8, v20, 3
	v_mad_u16 v20, v24, 9, v18
	ds_load_2addr_b64 v[16:19], v90 offset0:2 offset1:245
	v_and_b32_e32 v35, 0xff, v9
	ds_load_2addr_b64 v[8:11], v91 offset0:6 offset1:249
	v_lshlrev_b16 v24, 4, v39
	v_and_b32_e32 v27, 0xffff, v20
	ds_load_2addr_b64 v[20:23], v89 offset0:12 offset1:255
	v_lshlrev_b16 v25, 4, v40
	v_and_b32_e32 v24, 0xffff, v24
	s_wait_loadcnt_dscnt 0x102
	s_delay_alu instid0(VALU_DEP_2)
	v_dual_mul_f32 v51, v19, v7 :: v_dual_and_b32 v42, 0xffff, v25
	s_wait_dscnt 0x1
	v_dual_mul_f32 v44, v10, v1 :: v_dual_mul_f32 v45, v17, v3
	s_wait_dscnt 0x0
	v_dual_mul_f32 v47, v21, v5 :: v_dual_lshlrev_b32 v98, 3, v26
	v_add_co_u32 v30, s2, s10, v24
	v_dual_mul_f32 v50, v20, v5 :: v_dual_lshlrev_b32 v97, 3, v27
	v_fmac_f32_e32 v44, v11, v0
	ds_load_2addr_b64 v[24:27], v88 offset1:243
	v_dual_mul_f32 v43, v11, v1 :: v_dual_mul_f32 v46, v16, v3
	s_wait_loadcnt 0x0
	v_dual_mul_f32 v54, v23, v13 :: v_dual_lshlrev_b32 v41, 4, v35
	v_mul_f32_e32 v53, v18, v7
	v_dual_mul_f32 v55, v22, v13 :: v_dual_mul_f32 v56, v29, v15
	v_dual_mul_f32 v57, v28, v15 :: v_dual_fmac_f32 v50, v21, v4
	v_fma_f32 v10, v10, v0, -v43
	v_fma_f32 v11, v16, v2, -v45
	v_fmac_f32_e32 v46, v17, v2
	v_fma_f32 v16, v20, v4, -v47
	v_fma_f32 v18, v18, v6, -v51
	v_fmac_f32_e32 v53, v19, v6
	v_fma_f32 v17, v22, v12, -v54
	v_fmac_f32_e32 v55, v23, v12
	v_fma_f32 v20, v28, v14, -v56
	v_add_f32_e32 v28, v44, v46
	s_wait_dscnt 0x0
	v_add_f32_e32 v19, v24, v10
	v_dual_add_f32 v21, v10, v11 :: v_dual_add_f32 v22, v25, v44
	v_fmac_f32_e32 v57, v29, v14
	v_dual_sub_f32 v29, v10, v11 :: v_dual_add_f32 v54, v8, v17
	v_dual_sub_f32 v45, v50, v53 :: v_dual_sub_f32 v60, v17, v20
	v_dual_add_f32 v47, v27, v50 :: v_dual_add_f32 v50, v50, v53
	s_delay_alu instid0(VALU_DEP_4)
	v_dual_sub_f32 v23, v44, v46 :: v_dual_sub_f32 v58, v55, v57
	v_add_f32_e32 v44, v16, v18
	v_dual_sub_f32 v51, v16, v18 :: v_dual_add_f32 v56, v17, v20
	v_dual_add_f32 v43, v26, v16 :: v_dual_add_f32 v10, v19, v11
	v_add_f32_e32 v59, v9, v55
	v_fma_f32 v16, -0.5, v21, v24
	v_add_f32_e32 v55, v55, v57
	v_fma_f32 v17, -0.5, v28, v25
	v_fma_f32 v26, -0.5, v44, v26
	v_fmac_f32_e32 v27, -0.5, v50
	v_add_f32_e32 v11, v22, v46
	v_fma_f32 v8, -0.5, v56, v8
	v_fmamk_f32 v22, v23, 0x3f5db3d7, v16
	v_fmamk_f32 v24, v45, 0x3f5db3d7, v26
	v_fmac_f32_e32 v16, 0xbf5db3d7, v23
	v_fmac_f32_e32 v9, -0.5, v55
	v_fmamk_f32 v23, v29, 0xbf5db3d7, v17
	v_dual_fmac_f32 v17, 0x3f5db3d7, v29 :: v_dual_add_f32 v18, v43, v18
	v_dual_add_f32 v20, v54, v20 :: v_dual_add_f32 v19, v47, v53
	v_fmamk_f32 v28, v58, 0x3f5db3d7, v8
	v_dual_fmac_f32 v26, 0xbf5db3d7, v45 :: v_dual_fmamk_f32 v25, v51, 0xbf5db3d7, v27
	v_fmac_f32_e32 v27, 0x3f5db3d7, v51
	v_dual_add_f32 v21, v59, v57 :: v_dual_fmac_f32 v8, 0xbf5db3d7, v58
	v_fmamk_f32 v29, v60, 0xbf5db3d7, v9
	s_wait_alu 0xf1ff
	v_add_co_ci_u32_e64 v31, null, s11, 0, s2
	global_wb scope:SCOPE_SE
	s_barrier_signal -1
	s_barrier_wait -1
	global_inv scope:SCOPE_SE
	v_fmac_f32_e32 v9, 0x3f5db3d7, v60
	ds_store_2addr_b64 v94, v[10:11], v[22:23] offset1:3
	ds_store_b64 v94, v[16:17] offset:48
	ds_store_2addr_b64 v98, v[18:19], v[24:25] offset1:3
	ds_store_b64 v98, v[26:27] offset:48
	;; [unrolled: 2-line block ×3, first 2 shown]
	v_add_co_u32 v20, s2, s10, v42
	s_wait_alu 0xf1ff
	v_add_co_ci_u32_e64 v21, null, s11, 0, s2
	global_wb scope:SCOPE_SE
	s_wait_dscnt 0x0
	s_barrier_signal -1
	s_barrier_wait -1
	global_inv scope:SCOPE_SE
	s_clause 0x2
	global_load_b128 v[8:11], v41, s[10:11] offset:48
	global_load_b128 v[16:19], v[30:31], off offset:48
	global_load_b128 v[20:23], v[20:21], off offset:48
	v_mul_u32_u24_e32 v24, 0x2f69, v38
	v_mul_lo_u16 v26, v37, 19
	v_mul_u32_u24_e32 v25, 0x2f69, v49
	ds_load_b64 v[43:44], v88 offset:15552
	v_mul_lo_u16 v37, 0xcb, v37
	v_lshrrev_b32_e32 v24, 16, v24
	v_lshrrev_b16 v47, 9, v26
	v_lshrrev_b32_e32 v25, 16, v25
	s_delay_alu instid0(VALU_DEP_3) | instskip(NEXT) | instid1(VALU_DEP_2)
	v_sub_nc_u16 v27, v48, v24
	v_sub_nc_u16 v28, v52, v25
	s_delay_alu instid0(VALU_DEP_2) | instskip(NEXT) | instid1(VALU_DEP_2)
	v_lshrrev_b16 v26, 1, v27
	v_lshrrev_b16 v27, 1, v28
	v_mul_lo_u16 v28, v47, 27
	s_delay_alu instid0(VALU_DEP_3)
	v_add_nc_u16 v24, v26, v24
	v_and_b32_e32 v26, 0xffff, v32
	v_mad_u16 v32, v34, 27, v40
	v_add_nc_u16 v25, v27, v25
	v_sub_nc_u16 v27, v36, v28
	v_lshrrev_b16 v55, 4, v24
	v_mul_u32_u24_e32 v24, 27, v26
	v_and_b32_e32 v40, 0xffff, v32
	v_lshrrev_b16 v56, 4, v25
	ds_load_2addr_b64 v[28:31], v90 offset0:2 offset1:245
	v_mul_lo_u16 v25, v55, 27
	v_add_lshl_u32 v99, v24, v35, 3
	v_mad_u16 v24, v33, 27, v39
	v_mul_lo_u16 v26, v56, 27
	s_delay_alu instid0(VALU_DEP_4) | instskip(NEXT) | instid1(VALU_DEP_3)
	v_sub_nc_u16 v58, v48, v25
	v_and_b32_e32 v33, 0xffff, v24
	s_delay_alu instid0(VALU_DEP_3) | instskip(NEXT) | instid1(VALU_DEP_3)
	v_sub_nc_u16 v59, v52, v26
	v_lshlrev_b16 v39, 4, v58
	s_delay_alu instid0(VALU_DEP_2)
	v_lshlrev_b16 v41, 4, v59
	s_wait_loadcnt_dscnt 0x200
	v_mul_f32_e32 v60, v29, v11
	s_wait_loadcnt 0x0
	v_dual_mul_f32 v102, v44, v23 :: v_dual_lshlrev_b32 v101, 3, v33
	ds_load_2addr_b64 v[32:35], v89 offset0:12 offset1:255
	v_and_b32_e32 v57, 0xff, v27
	ds_load_2addr_b64 v[24:27], v91 offset0:6 offset1:249
	v_mul_f32_e32 v62, v31, v19
	s_wait_dscnt 0x1
	v_mul_f32_e32 v66, v35, v21
	v_mul_f32_e32 v65, v32, v17
	v_mul_f32_e32 v64, v33, v17
	s_wait_dscnt 0x0
	v_mul_f32_e32 v54, v26, v9
	v_dual_mul_f32 v53, v27, v9 :: v_dual_lshlrev_b32 v100, 3, v40
	v_fmac_f32_e32 v65, v33, v16
	v_mul_f32_e32 v61, v28, v11
	v_fma_f32 v28, v28, v10, -v60
	v_fmac_f32_e32 v54, v27, v8
	v_fma_f32 v26, v26, v8, -v53
	v_and_b32_e32 v51, 0xffff, v41
	v_fmac_f32_e32 v61, v29, v10
	v_fma_f32 v29, v32, v16, -v64
	v_mul_f32_e32 v63, v30, v19
	v_fma_f32 v30, v30, v18, -v62
	v_fma_f32 v32, v43, v22, -v102
	v_lshlrev_b32_e32 v50, 4, v57
	s_delay_alu instid0(VALU_DEP_3) | instskip(SKIP_3) | instid1(VALU_DEP_2)
	v_add_f32_e32 v60, v29, v30
	v_fmac_f32_e32 v63, v31, v18
	v_fma_f32 v31, v34, v20, -v66
	v_sub_f32_e32 v102, v29, v30
	v_add_f32_e32 v66, v24, v31
	v_and_b32_e32 v39, 0xffff, v39
	v_add_f32_e32 v105, v31, v32
	v_sub_f32_e32 v106, v31, v32
	s_delay_alu instid0(VALU_DEP_4)
	v_add_f32_e32 v32, v66, v32
	v_dual_mul_f32 v67, v34, v21 :: v_dual_sub_f32 v62, v65, v63
	v_add_f32_e32 v34, v54, v61
	v_add_co_u32 v45, s2, s10, v39
	ds_load_2addr_b64 v[39:42], v88 offset1:243
	v_fmac_f32_e32 v67, v35, v20
	v_fma_f32 v24, -0.5, v105, v24
	s_wait_alu 0xf1ff
	v_add_co_ci_u32_e64 v46, null, s11, 0, s2
	global_wb scope:SCOPE_SE
	s_wait_dscnt 0x0
	s_barrier_signal -1
	s_barrier_wait -1
	global_inv scope:SCOPE_SE
	v_add_f32_e32 v33, v39, v26
	v_mul_f32_e32 v103, v43, v23
	v_add_f32_e32 v53, v41, v29
	v_add_f32_e32 v27, v26, v28
	v_sub_f32_e32 v43, v54, v61
	v_fma_f32 v41, -0.5, v60, v41
	v_dual_fmac_f32 v103, v44, v22 :: v_dual_sub_f32 v44, v26, v28
	v_add_f32_e32 v30, v53, v30
	v_fma_f32 v26, -0.5, v27, v39
	s_delay_alu instid0(VALU_DEP_3)
	v_dual_add_f32 v35, v40, v54 :: v_dual_sub_f32 v104, v67, v103
	v_add_f32_e32 v54, v42, v65
	v_add_f32_e32 v64, v65, v63
	;; [unrolled: 1-line block ×3, first 2 shown]
	v_fma_f32 v27, -0.5, v34, v40
	v_fmamk_f32 v39, v62, 0x3f5db3d7, v41
	s_delay_alu instid0(VALU_DEP_4) | instskip(SKIP_1) | instid1(VALU_DEP_2)
	v_dual_add_f32 v31, v54, v63 :: v_dual_fmac_f32 v42, -0.5, v64
	v_add_f32_e32 v67, v67, v103
	v_dual_fmac_f32 v41, 0xbf5db3d7, v62 :: v_dual_fmamk_f32 v40, v102, 0xbf5db3d7, v42
	s_delay_alu instid0(VALU_DEP_2)
	v_dual_fmac_f32 v25, -0.5, v67 :: v_dual_fmac_f32 v42, 0x3f5db3d7, v102
	v_fmamk_f32 v34, v43, 0x3f5db3d7, v26
	v_add_f32_e32 v29, v35, v61
	v_dual_fmamk_f32 v35, v44, 0xbf5db3d7, v27 :: v_dual_fmac_f32 v26, 0xbf5db3d7, v43
	v_add_f32_e32 v28, v33, v28
	v_fmac_f32_e32 v27, 0x3f5db3d7, v44
	v_fmamk_f32 v43, v104, 0x3f5db3d7, v24
	v_dual_fmac_f32 v24, 0xbf5db3d7, v104 :: v_dual_add_f32 v33, v65, v103
	v_fmamk_f32 v44, v106, 0xbf5db3d7, v25
	v_fmac_f32_e32 v25, 0x3f5db3d7, v106
	ds_store_2addr_b64 v99, v[28:29], v[34:35] offset1:9
	ds_store_b64 v99, v[26:27] offset:144
	ds_store_2addr_b64 v101, v[30:31], v[39:40] offset1:9
	ds_store_b64 v101, v[41:42] offset:144
	;; [unrolled: 2-line block ×3, first 2 shown]
	v_add_co_u32 v32, s2, s10, v51
	s_wait_alu 0xf1ff
	v_add_co_ci_u32_e64 v33, null, s11, 0, s2
	global_wb scope:SCOPE_SE
	s_wait_dscnt 0x0
	s_barrier_signal -1
	s_barrier_wait -1
	global_inv scope:SCOPE_SE
	s_clause 0x2
	global_load_b128 v[24:27], v50, s[10:11] offset:192
	global_load_b128 v[28:31], v[45:46], off offset:192
	global_load_b128 v[32:35], v[32:33], off offset:192
	v_lshrrev_b16 v50, 14, v37
	v_mul_u32_u24_e32 v37, 0x6523, v38
	v_mul_u32_u24_e32 v38, 0x6523, v49
	v_mad_u16 v44, 0x51, v55, v58
	v_mad_u16 v45, 0x51, v56, v59
	v_mul_lo_u16 v39, 0x51, v50
	v_lshrrev_b32_e32 v51, 21, v37
	v_lshrrev_b32_e32 v53, 21, v38
	v_and_b32_e32 v56, 0xffff, v44
	v_mul_u32_u24_e32 v49, 0xdb3, v49
	v_sub_nc_u16 v36, v36, v39
	v_mul_lo_u16 v38, 0x51, v51
	v_mul_lo_u16 v39, 0x51, v53
	v_lshlrev_b32_e32 v104, 3, v56
	v_lshrrev_b32_e32 v49, 16, v49
	v_and_b32_e32 v54, 0xff, v36
	v_sub_nc_u16 v63, v48, v38
	v_sub_nc_u16 v64, v52, v39
	v_and_b32_e32 v50, 0xffff, v50
	s_delay_alu instid0(VALU_DEP_3) | instskip(NEXT) | instid1(VALU_DEP_3)
	v_lshlrev_b16 v40, 4, v63
	v_lshlrev_b16 v41, 4, v64
	v_mad_u16 v53, 0xf3, v53, v64
	v_mad_u16 v51, 0xf3, v51, v63
	s_delay_alu instid0(VALU_DEP_4) | instskip(NEXT) | instid1(VALU_DEP_4)
	v_and_b32_e32 v55, 0xffff, v40
	v_and_b32_e32 v66, 0xffff, v41
	ds_load_2addr_b64 v[40:43], v89 offset0:12 offset1:255
	v_and_b32_e32 v53, 0xffff, v53
	s_wait_loadcnt_dscnt 0x100
	v_mul_f32_e32 v108, v41, v29
	s_wait_loadcnt 0x0
	v_mul_f32_e32 v111, v42, v33
	v_mul_f32_e32 v110, v43, v33
	s_delay_alu instid0(VALU_DEP_2) | instskip(SKIP_1) | instid1(VALU_DEP_1)
	v_fmac_f32_e32 v111, v43, v32
	v_mul_f32_e32 v109, v40, v29
	v_fmac_f32_e32 v109, v41, v28
	v_and_b32_e32 v37, 0xffff, v47
	s_delay_alu instid0(VALU_DEP_1) | instskip(NEXT) | instid1(VALU_DEP_1)
	v_mul_u32_u24_e32 v37, 0x51, v37
	v_add_lshl_u32 v102, v37, v57, 3
	ds_load_2addr_b64 v[36:39], v90 offset0:2 offset1:245
	s_wait_dscnt 0x0
	v_mul_f32_e32 v105, v36, v27
	v_mul_f32_e32 v106, v39, v31
	;; [unrolled: 1-line block ×3, first 2 shown]
	s_delay_alu instid0(VALU_DEP_3) | instskip(NEXT) | instid1(VALU_DEP_3)
	v_fmac_f32_e32 v105, v37, v26
	v_fma_f32 v38, v38, v30, -v106
	s_delay_alu instid0(VALU_DEP_3)
	v_fmac_f32_e32 v107, v39, v30
	v_fma_f32 v39, v42, v32, -v110
	v_mul_f32_e32 v67, v37, v27
	v_fma_f32 v37, v40, v28, -v108
	v_and_b32_e32 v57, 0xffff, v45
	ds_load_2addr_b64 v[44:47], v91 offset0:6 offset1:249
	ds_load_b64 v[59:60], v88 offset:15552
	v_sub_f32_e32 v108, v109, v107
	v_add_co_u32 v61, s2, s10, v55
	v_dual_add_f32 v110, v37, v38 :: v_dual_lshlrev_b32 v103, 3, v57
	ds_load_2addr_b64 v[55:58], v88 offset1:243
	s_wait_alu 0xf1ff
	v_add_co_ci_u32_e64 v62, null, s11, 0, s2
	global_wb scope:SCOPE_SE
	s_wait_dscnt 0x0
	s_barrier_signal -1
	s_barrier_wait -1
	global_inv scope:SCOPE_SE
	v_mul_f32_e32 v112, v47, v25
	v_mul_f32_e32 v114, v60, v35
	;; [unrolled: 1-line block ×3, first 2 shown]
	v_add_f32_e32 v116, v44, v39
	v_add_f32_e32 v117, v45, v111
	v_fma_f32 v40, v46, v24, -v112
	v_fma_f32 v42, v59, v34, -v114
	v_dual_mul_f32 v113, v46, v25 :: v_dual_sub_f32 v112, v37, v38
	v_fmac_f32_e32 v115, v60, v34
	s_delay_alu instid0(VALU_DEP_4) | instskip(NEXT) | instid1(VALU_DEP_4)
	v_add_f32_e32 v43, v55, v40
	v_sub_f32_e32 v118, v39, v42
	v_fma_f32 v36, v36, v26, -v67
	s_delay_alu instid0(VALU_DEP_4) | instskip(SKIP_2) | instid1(VALU_DEP_4)
	v_dual_add_f32 v114, v111, v115 :: v_dual_lshlrev_b32 v65, 4, v54
	v_sub_f32_e32 v111, v111, v115
	v_fmac_f32_e32 v113, v47, v24
	v_add_f32_e32 v47, v40, v36
	s_delay_alu instid0(VALU_DEP_4) | instskip(SKIP_1) | instid1(VALU_DEP_4)
	v_dual_sub_f32 v106, v40, v36 :: v_dual_fmac_f32 v45, -0.5, v114
	v_add_f32_e32 v60, v58, v109
	v_add_f32_e32 v41, v56, v113
	v_sub_f32_e32 v59, v113, v105
	v_add_f32_e32 v46, v113, v105
	v_fma_f32 v40, -0.5, v47, v55
	v_add_f32_e32 v67, v57, v37
	v_add_f32_e32 v37, v41, v105
	;; [unrolled: 1-line block ×3, first 2 shown]
	v_fma_f32 v41, -0.5, v46, v56
	v_fmamk_f32 v46, v59, 0x3f5db3d7, v40
	v_fmac_f32_e32 v40, 0xbf5db3d7, v59
	v_add_f32_e32 v109, v109, v107
	v_fma_f32 v57, -0.5, v110, v57
	v_fma_f32 v44, -0.5, v113, v44
	v_fmamk_f32 v47, v106, 0xbf5db3d7, v41
	s_delay_alu instid0(VALU_DEP_4) | instskip(SKIP_3) | instid1(VALU_DEP_4)
	v_dual_fmac_f32 v41, 0x3f5db3d7, v106 :: v_dual_fmac_f32 v58, -0.5, v109
	v_lshlrev_b32_e32 v106, 3, v53
	v_dual_add_f32 v36, v43, v36 :: v_dual_add_f32 v39, v60, v107
	v_dual_add_f32 v38, v67, v38 :: v_dual_fmamk_f32 v55, v108, 0x3f5db3d7, v57
	v_dual_fmamk_f32 v56, v112, 0xbf5db3d7, v58 :: v_dual_fmac_f32 v57, 0xbf5db3d7, v108
	v_fmac_f32_e32 v58, 0x3f5db3d7, v112
	v_dual_add_f32 v42, v116, v42 :: v_dual_add_f32 v43, v117, v115
	v_fmamk_f32 v59, v111, 0x3f5db3d7, v44
	v_fmac_f32_e32 v44, 0xbf5db3d7, v111
	v_fmamk_f32 v60, v118, 0xbf5db3d7, v45
	v_fmac_f32_e32 v45, 0x3f5db3d7, v118
	ds_store_2addr_b64 v102, v[36:37], v[46:47] offset1:27
	ds_store_b64 v102, v[40:41] offset:432
	ds_store_2addr_b64 v104, v[38:39], v[55:56] offset1:27
	ds_store_b64 v104, v[57:58] offset:432
	;; [unrolled: 2-line block ×3, first 2 shown]
	v_add_co_u32 v44, s2, s10, v66
	s_wait_alu 0xf1ff
	v_add_co_ci_u32_e64 v45, null, s11, 0, s2
	global_wb scope:SCOPE_SE
	s_wait_dscnt 0x0
	s_barrier_signal -1
	s_barrier_wait -1
	global_inv scope:SCOPE_SE
	s_clause 0x2
	global_load_b128 v[36:39], v65, s[10:11] offset:624
	global_load_b128 v[40:43], v[61:62], off offset:624
	global_load_b128 v[44:47], v[44:45], off offset:624
	v_sub_nc_u16 v55, v52, v49
	ds_load_2addr_b64 v[59:62], v89 offset0:12 offset1:255
	ds_load_2addr_b64 v[63:66], v91 offset0:6 offset1:249
	v_mul_u32_u24_e32 v67, 0xf3, v50
	v_lshlrev_b32_e32 v118, 4, v87
	v_lshrrev_b16 v55, 1, v55
	s_delay_alu instid0(VALU_DEP_3) | instskip(NEXT) | instid1(VALU_DEP_2)
	v_add_lshl_u32 v108, v67, v54, 3
	v_add_nc_u16 v49, v55, v49
	ds_load_2addr_b64 v[55:58], v90 offset0:2 offset1:245
	v_lshrrev_b16 v49, 7, v49
	s_delay_alu instid0(VALU_DEP_1) | instskip(NEXT) | instid1(VALU_DEP_1)
	v_mul_lo_u16 v49, 0xf3, v49
	v_sub_nc_u16 v105, v52, v49
	ds_load_b64 v[49:50], v88 offset:15552
	v_lshlrev_b16 v109, 4, v105
	s_wait_loadcnt_dscnt 0x201
	v_mul_f32_e32 v53, v56, v39
	v_mul_f32_e32 v54, v55, v39
	s_wait_loadcnt 0x1
	v_dual_mul_f32 v67, v58, v43 :: v_dual_mul_f32 v114, v60, v41
	v_mul_f32_e32 v113, v57, v43
	v_mul_f32_e32 v119, v66, v37
	v_fma_f32 v53, v55, v38, -v53
	v_fmac_f32_e32 v54, v56, v38
	v_fma_f32 v55, v57, v42, -v67
	v_fma_f32 v56, v59, v40, -v114
	v_fmac_f32_e32 v113, v58, v42
	v_fma_f32 v58, v65, v36, -v119
	v_dual_mul_f32 v120, v65, v37 :: v_dual_and_b32 v51, 0xffff, v51
	s_delay_alu instid0(VALU_DEP_4) | instskip(SKIP_2) | instid1(VALU_DEP_3)
	v_sub_f32_e32 v119, v56, v55
	v_mul_f32_e32 v115, v59, v41
	s_wait_loadcnt 0x0
	v_dual_mul_f32 v116, v62, v45 :: v_dual_lshlrev_b32 v107, 3, v51
	v_mul_f32_e32 v117, v61, v45
	s_wait_dscnt 0x0
	v_mul_f32_e32 v121, v50, v47
	v_dual_fmac_f32 v115, v60, v40 :: v_dual_mul_f32 v122, v49, v47
	v_fmac_f32_e32 v120, v66, v36
	v_fma_f32 v57, v61, v44, -v116
	s_delay_alu instid0(VALU_DEP_3)
	v_dual_fmac_f32 v117, v62, v44 :: v_dual_add_f32 v114, v115, v113
	v_and_b32_e32 v51, 0xffff, v109
	ds_load_2addr_b64 v[109:112], v88 offset1:243
	v_fma_f32 v59, v49, v46, -v121
	v_fmac_f32_e32 v122, v50, v46
	v_dual_add_f32 v60, v120, v54 :: v_dual_add_f32 v65, v58, v53
	v_add_f32_e32 v116, v56, v55
	v_sub_f32_e32 v61, v120, v54
	s_delay_alu instid0(VALU_DEP_4)
	v_sub_f32_e32 v121, v117, v122
	v_add_f32_e32 v124, v57, v59
	v_sub_f32_e32 v66, v58, v53
	v_add_f32_e32 v123, v63, v57
	v_sub_f32_e32 v67, v115, v113
	v_sub_f32_e32 v125, v57, v59
	v_fma_f32 v63, -0.5, v124, v63
	global_wb scope:SCOPE_SE
	s_wait_dscnt 0x0
	v_add_f32_e32 v57, v123, v59
	s_barrier_signal -1
	s_barrier_wait -1
	global_inv scope:SCOPE_SE
	v_dual_add_f32 v49, v110, v120 :: v_dual_add_f32 v62, v109, v58
	v_dual_add_f32 v120, v64, v117 :: v_dual_add_f32 v117, v117, v122
	v_add_f32_e32 v58, v112, v115
	s_delay_alu instid0(VALU_DEP_3)
	v_dual_add_f32 v50, v49, v54 :: v_dual_add_f32 v49, v62, v53
	v_fma_f32 v53, -0.5, v65, v109
	v_fma_f32 v54, -0.5, v60, v110
	v_add_f32_e32 v115, v111, v56
	v_fma_f32 v111, -0.5, v116, v111
	v_fmac_f32_e32 v112, -0.5, v114
	v_dual_fmac_f32 v64, -0.5, v117 :: v_dual_fmamk_f32 v59, v61, 0x3f5db3d7, v53
	v_dual_fmamk_f32 v60, v66, 0xbf5db3d7, v54 :: v_dual_fmac_f32 v53, 0xbf5db3d7, v61
	v_fmac_f32_e32 v54, 0x3f5db3d7, v66
	v_dual_add_f32 v56, v58, v113 :: v_dual_add_f32 v55, v115, v55
	v_fmamk_f32 v61, v67, 0x3f5db3d7, v111
	v_dual_fmamk_f32 v62, v119, 0xbf5db3d7, v112 :: v_dual_fmac_f32 v111, 0xbf5db3d7, v67
	v_fmac_f32_e32 v112, 0x3f5db3d7, v119
	v_dual_add_f32 v58, v120, v122 :: v_dual_fmamk_f32 v65, v121, 0x3f5db3d7, v63
	v_dual_fmamk_f32 v66, v125, 0xbf5db3d7, v64 :: v_dual_fmac_f32 v63, 0xbf5db3d7, v121
	v_fmac_f32_e32 v64, 0x3f5db3d7, v125
	ds_store_2addr_b64 v108, v[49:50], v[59:60] offset1:81
	ds_store_b64 v108, v[53:54] offset:1296
	ds_store_2addr_b64 v107, v[55:56], v[61:62] offset1:81
	ds_store_b64 v107, v[111:112] offset:1296
	;; [unrolled: 2-line block ×3, first 2 shown]
	v_add_co_u32 v49, s2, s10, v51
	s_wait_alu 0xf1ff
	v_add_co_ci_u32_e64 v50, null, s11, 0, s2
	global_wb scope:SCOPE_SE
	s_wait_dscnt 0x0
	s_barrier_signal -1
	s_barrier_wait -1
	global_inv scope:SCOPE_SE
	s_clause 0x1
	global_load_b128 v[64:67], v[49:50], off offset:1920
	global_load_b128 v[60:63], v118, s[10:11] offset:1920
	ds_load_2addr_b64 v[53:56], v90 offset0:2 offset1:245
	ds_load_2addr_b64 v[110:113], v91 offset0:6 offset1:249
	;; [unrolled: 1-line block ×3, first 2 shown]
	ds_load_b64 v[57:58], v88 offset:15552
	v_and_b32_e32 v49, 0xffff, v105
	s_add_nc_u64 s[2:3], s[8:9], 0x4458
	s_wait_loadcnt_dscnt 0x100
	v_dual_mul_f32 v128, v116, v65 :: v_dual_mul_f32 v129, v57, v67
	v_mul_f32_e32 v130, v58, v67
	s_wait_loadcnt 0x0
	v_mul_f32_e32 v120, v53, v63
	v_mul_f32_e32 v122, v55, v63
	v_dual_fmac_f32 v128, v117, v64 :: v_dual_fmac_f32 v129, v58, v66
	v_mul_f32_e32 v126, v114, v61
	v_mul_f32_e32 v127, v117, v65
	v_fma_f32 v57, v57, v66, -v130
	s_delay_alu instid0(VALU_DEP_4)
	v_dual_mul_f32 v119, v54, v63 :: v_dual_sub_f32 v130, v128, v129
	v_mul_f32_e32 v123, v113, v61
	v_mul_f32_e32 v124, v112, v61
	v_fmac_f32_e32 v120, v54, v62
	v_fmac_f32_e32 v122, v56, v62
	;; [unrolled: 1-line block ×3, first 2 shown]
	v_fma_f32 v54, v112, v60, -v123
	v_fma_f32 v112, v116, v64, -v127
	v_fmac_f32_e32 v124, v113, v60
	v_fma_f32 v53, v53, v62, -v119
	v_sub_f32_e32 v123, v126, v122
	v_mul_f32_e32 v125, v115, v61
	v_dual_add_f32 v132, v112, v57 :: v_dual_add_f32 v131, v110, v112
	s_delay_alu instid0(VALU_DEP_4) | instskip(SKIP_1) | instid1(VALU_DEP_3)
	v_dual_add_f32 v116, v54, v53 :: v_dual_add_f32 v113, v124, v120
	v_add_f32_e32 v127, v111, v128
	v_fma_f32 v110, -0.5, v132, v110
	v_mul_f32_e32 v121, v56, v63
	v_fma_f32 v56, v114, v60, -v125
	v_dual_sub_f32 v114, v124, v120 :: v_dual_lshlrev_b32 v105, 3, v49
	v_lshlrev_b32_e32 v59, 4, v48
	ds_load_2addr_b64 v[48:51], v88 offset1:243
	v_add_f32_e32 v128, v128, v129
	v_sub_f32_e32 v117, v54, v53
	v_sub_f32_e32 v133, v112, v57
	v_add_f32_e32 v57, v131, v57
	global_wb scope:SCOPE_SE
	s_wait_dscnt 0x0
	v_fmac_f32_e32 v111, -0.5, v128
	s_barrier_signal -1
	s_barrier_wait -1
	global_inv scope:SCOPE_SE
	v_add_f32_e32 v115, v48, v54
	v_fma_f32 v48, -0.5, v116, v48
	v_fmamk_f32 v116, v130, 0x3f5db3d7, v110
	v_fma_f32 v55, v55, v62, -v121
	v_add_f32_e32 v58, v49, v124
	v_add_f32_e32 v124, v126, v122
	v_fma_f32 v49, -0.5, v113, v49
	v_add_f32_e32 v119, v50, v56
	v_add_f32_e32 v125, v56, v55
	v_dual_add_f32 v121, v51, v126 :: v_dual_sub_f32 v126, v56, v55
	v_fmac_f32_e32 v51, -0.5, v124
	v_add_f32_e32 v54, v58, v120
	s_delay_alu instid0(VALU_DEP_4)
	v_fma_f32 v50, -0.5, v125, v50
	v_dual_add_f32 v53, v115, v53 :: v_dual_fmamk_f32 v112, v114, 0x3f5db3d7, v48
	v_fmamk_f32 v113, v117, 0xbf5db3d7, v49
	v_dual_add_f32 v55, v119, v55 :: v_dual_add_f32 v56, v121, v122
	v_fmac_f32_e32 v48, 0xbf5db3d7, v114
	v_dual_fmac_f32 v49, 0x3f5db3d7, v117 :: v_dual_fmamk_f32 v114, v123, 0x3f5db3d7, v50
	v_dual_fmac_f32 v50, 0xbf5db3d7, v123 :: v_dual_fmamk_f32 v115, v126, 0xbf5db3d7, v51
	v_fmac_f32_e32 v51, 0x3f5db3d7, v126
	v_add_nc_u32_e32 v109, 0x2d80, v105
	v_dual_add_f32 v58, v127, v129 :: v_dual_fmamk_f32 v117, v133, 0xbf5db3d7, v111
	v_fmac_f32_e32 v110, 0xbf5db3d7, v130
	v_fmac_f32_e32 v111, 0x3f5db3d7, v133
	ds_store_2addr_b64 v88, v[53:54], v[112:113] offset1:243
	ds_store_2addr_b64 v91, v[48:49], v[55:56] offset0:6 offset1:249
	ds_store_2addr_b64 v89, v[114:115], v[50:51] offset0:12 offset1:255
	;; [unrolled: 1-line block ×3, first 2 shown]
	ds_store_b64 v105, v[110:111] offset:15552
	v_lshlrev_b32_e32 v56, 4, v52
	global_wb scope:SCOPE_SE
	s_wait_dscnt 0x0
	s_barrier_signal -1
	s_barrier_wait -1
	global_inv scope:SCOPE_SE
	s_clause 0x2
	global_load_b128 v[48:51], v118, s[10:11] offset:5808
	global_load_b128 v[52:55], v59, s[10:11] offset:5808
	;; [unrolled: 1-line block ×3, first 2 shown]
	ds_load_2addr_b64 v[110:113], v90 offset0:2 offset1:245
	ds_load_2addr_b64 v[114:117], v89 offset0:12 offset1:255
	;; [unrolled: 1-line block ×3, first 2 shown]
	ds_load_b64 v[126:127], v88 offset:15552
	ds_load_2addr_b64 v[122:125], v88 offset1:243
	s_wait_loadcnt_dscnt 0x202
	v_dual_mul_f32 v128, v111, v51 :: v_dual_mul_f32 v137, v120, v49
	v_mul_f32_e32 v129, v110, v51
	s_wait_loadcnt 0x1
	v_dual_mul_f32 v131, v112, v55 :: v_dual_mul_f32 v132, v115, v53
	v_mul_f32_e32 v133, v114, v53
	v_mul_f32_e32 v136, v121, v49
	;; [unrolled: 1-line block ×3, first 2 shown]
	s_wait_loadcnt 0x0
	v_mul_f32_e32 v134, v117, v57
	s_wait_dscnt 0x1
	v_dual_mul_f32 v135, v116, v57 :: v_dual_mul_f32 v138, v127, v59
	v_fma_f32 v110, v110, v50, -v128
	v_dual_mul_f32 v128, v126, v59 :: v_dual_fmac_f32 v137, v121, v48
	v_fmac_f32_e32 v129, v111, v50
	v_fmac_f32_e32 v131, v113, v54
	v_fma_f32 v111, v114, v52, -v132
	v_fmac_f32_e32 v133, v115, v52
	v_fma_f32 v113, v120, v48, -v136
	v_fma_f32 v112, v112, v54, -v130
	;; [unrolled: 1-line block ×3, first 2 shown]
	v_fmac_f32_e32 v135, v117, v56
	v_fma_f32 v116, v126, v58, -v138
	v_fmac_f32_e32 v128, v127, v58
	s_wait_dscnt 0x0
	v_add_f32_e32 v115, v123, v137
	v_add_f32_e32 v120, v137, v129
	v_dual_add_f32 v121, v122, v113 :: v_dual_add_f32 v126, v113, v110
	v_sub_f32_e32 v127, v113, v110
	v_dual_add_f32 v113, v124, v111 :: v_dual_add_f32 v130, v125, v133
	v_sub_f32_e32 v117, v137, v129
	v_sub_f32_e32 v132, v133, v131
	v_dual_add_f32 v133, v133, v131 :: v_dual_add_f32 v134, v111, v112
	v_sub_f32_e32 v136, v111, v112
	v_add_f32_e32 v137, v114, v116
	v_add_f32_e32 v111, v115, v129
	v_dual_add_f32 v129, v135, v128 :: v_dual_add_f32 v110, v121, v110
	v_dual_add_f32 v121, v118, v114 :: v_dual_add_f32 v112, v113, v112
	v_add_f32_e32 v113, v130, v131
	v_add_f32_e32 v130, v119, v135
	v_sub_f32_e32 v131, v135, v128
	v_sub_f32_e32 v135, v114, v116
	v_fma_f32 v114, -0.5, v126, v122
	v_fma_f32 v115, -0.5, v120, v123
	;; [unrolled: 1-line block ×3, first 2 shown]
	v_fmac_f32_e32 v125, -0.5, v133
	v_fma_f32 v118, -0.5, v137, v118
	v_dual_fmac_f32 v119, -0.5, v129 :: v_dual_add_f32 v116, v121, v116
	v_fmamk_f32 v120, v117, 0x3f5db3d7, v114
	v_dual_fmamk_f32 v121, v127, 0xbf5db3d7, v115 :: v_dual_fmac_f32 v114, 0xbf5db3d7, v117
	v_dual_fmac_f32 v115, 0x3f5db3d7, v127 :: v_dual_fmamk_f32 v122, v132, 0x3f5db3d7, v124
	v_dual_fmac_f32 v124, 0xbf5db3d7, v132 :: v_dual_fmamk_f32 v123, v136, 0xbf5db3d7, v125
	;; [unrolled: 1-line block ×4, first 2 shown]
	v_fmac_f32_e32 v119, 0x3f5db3d7, v135
	v_add_f32_e32 v117, v130, v128
	ds_store_b64 v88, v[120:121] offset:5832
	ds_store_b64 v88, v[114:115] offset:11664
	ds_store_2addr_b64 v88, v[110:111], v[112:113] offset1:243
	ds_store_2addr_b64 v92, v[124:125], v[118:119] offset0:5 offset1:248
	ds_store_2addr_b64 v89, v[122:123], v[126:127] offset0:12 offset1:255
	ds_store_b64 v88, v[116:117] offset:3888
	global_wb scope:SCOPE_SE
	s_wait_dscnt 0x0
	s_barrier_signal -1
	s_barrier_wait -1
	global_inv scope:SCOPE_SE
	s_clause 0x8
	global_load_b64 v[114:115], v88, s[8:9] offset:17496
	global_load_b64 v[118:119], v88, s[2:3] offset:1944
	;; [unrolled: 1-line block ×9, first 2 shown]
	ds_load_2addr_b64 v[110:113], v88 offset1:243
	s_mov_b32 s2, 0x80feb65f
	s_mov_b32 s3, 0x3f3df756
	s_wait_loadcnt_dscnt 0x700
	v_mul_f32_e32 v137, v112, v119
	s_delay_alu instid0(VALU_DEP_1) | instskip(SKIP_2) | instid1(VALU_DEP_2)
	v_fmac_f32_e32 v137, v113, v118
	v_mul_f32_e32 v117, v111, v115
	v_mul_f32_e32 v116, v110, v115
	v_fma_f32 v115, v110, v114, -v117
	s_delay_alu instid0(VALU_DEP_2)
	v_fmac_f32_e32 v116, v111, v114
	v_mul_f32_e32 v110, v113, v119
	ds_store_b64 v88, v[115:116]
	ds_load_2addr_b64 v[114:117], v91 offset0:6 offset1:249
	ds_load_b64 v[134:135], v88 offset:15552
	v_fma_f32 v136, v112, v118, -v110
	ds_load_2addr_b64 v[110:113], v89 offset0:12 offset1:255
	s_wait_loadcnt_dscnt 0x602
	v_mul_f32_e32 v138, v117, v121
	v_mul_f32_e32 v119, v116, v121
	s_wait_loadcnt 0x5
	v_mul_f32_e32 v121, v114, v123
	s_delay_alu instid0(VALU_DEP_3) | instskip(NEXT) | instid1(VALU_DEP_3)
	v_fma_f32 v118, v116, v120, -v138
	v_dual_mul_f32 v116, v115, v123 :: v_dual_fmac_f32 v119, v117, v120
	s_delay_alu instid0(VALU_DEP_3) | instskip(SKIP_2) | instid1(VALU_DEP_3)
	v_fmac_f32_e32 v121, v115, v122
	s_wait_loadcnt_dscnt 0x401
	v_mul_f32_e32 v123, v134, v125
	v_fma_f32 v120, v114, v122, -v116
	ds_load_2addr_b64 v[114:117], v90 offset0:2 offset1:245
	s_wait_loadcnt_dscnt 0x301
	v_dual_mul_f32 v122, v135, v125 :: v_dual_mul_f32 v125, v110, v127
	v_fmac_f32_e32 v123, v135, v124
	s_wait_loadcnt 0x1
	v_mul_f32_e32 v135, v113, v131
	s_delay_alu instid0(VALU_DEP_3) | instskip(SKIP_4) | instid1(VALU_DEP_4)
	v_fma_f32 v122, v134, v124, -v122
	v_mul_f32_e32 v134, v111, v127
	v_mul_f32_e32 v127, v112, v131
	v_fmac_f32_e32 v125, v111, v126
	v_add_nc_u32_e32 v131, 0x1680, v88
	v_fma_f32 v124, v110, v126, -v134
	v_fma_f32 v126, v112, v130, -v135
	v_dual_fmac_f32 v127, v113, v130 :: v_dual_add_nc_u32 v134, 0x780, v88
	s_wait_loadcnt_dscnt 0x0
	v_mul_f32_e32 v110, v115, v133
	v_mul_f32_e32 v111, v114, v133
	;; [unrolled: 1-line block ×4, first 2 shown]
	v_add_nc_u32_e32 v129, 0x25c0, v88
	v_fma_f32 v110, v114, v132, -v110
	v_fmac_f32_e32 v111, v115, v132
	v_fma_f32 v112, v116, v128, -v112
	v_fmac_f32_e32 v113, v117, v128
	ds_store_2addr_b64 v131, v[118:119], v[124:125] offset0:9 offset1:252
	ds_store_2addr_b64 v134, v[136:137], v[120:121] offset0:3 offset1:246
	;; [unrolled: 1-line block ×4, first 2 shown]
	global_wb scope:SCOPE_SE
	s_wait_dscnt 0x0
	s_barrier_signal -1
	s_barrier_wait -1
	global_inv scope:SCOPE_SE
	ds_load_2addr_b64 v[110:113], v88 offset1:243
	ds_load_2addr_b64 v[114:117], v91 offset0:6 offset1:249
	ds_load_2addr_b64 v[118:121], v90 offset0:2 offset1:245
	;; [unrolled: 1-line block ×3, first 2 shown]
	ds_load_b64 v[126:127], v88 offset:15552
	global_wb scope:SCOPE_SE
	s_wait_dscnt 0x0
	s_barrier_signal -1
	s_barrier_wait -1
	global_inv scope:SCOPE_SE
	v_dual_add_f32 v129, v111, v117 :: v_dual_add_f32 v128, v110, v116
	v_dual_add_f32 v135, v113, v123 :: v_dual_add_f32 v130, v116, v118
	v_add_f32_e32 v131, v117, v119
	v_sub_f32_e32 v132, v117, v119
	v_dual_add_f32 v136, v122, v120 :: v_dual_sub_f32 v137, v123, v121
	v_add_f32_e32 v117, v129, v119
	v_add_f32_e32 v119, v135, v121
	;; [unrolled: 1-line block ×3, first 2 shown]
	v_sub_f32_e32 v133, v116, v118
	v_add_f32_e32 v134, v112, v122
	v_add_f32_e32 v116, v128, v118
	v_sub_f32_e32 v128, v122, v120
	v_dual_add_f32 v122, v124, v126 :: v_dual_add_f32 v123, v115, v125
	v_sub_f32_e32 v129, v125, v127
	v_add_f32_e32 v125, v125, v127
	v_fma_f32 v110, -0.5, v130, v110
	v_fma_f32 v111, -0.5, v131, v111
	;; [unrolled: 1-line block ×3, first 2 shown]
	v_dual_fmac_f32 v113, -0.5, v121 :: v_dual_add_f32 v118, v134, v120
	v_add_f32_e32 v120, v114, v124
	v_sub_f32_e32 v134, v124, v126
	v_fma_f32 v114, -0.5, v122, v114
	v_fmac_f32_e32 v115, -0.5, v125
	v_dual_add_f32 v121, v123, v127 :: v_dual_fmamk_f32 v122, v132, 0xbf5db3d7, v110
	v_dual_fmamk_f32 v123, v133, 0x3f5db3d7, v111 :: v_dual_fmac_f32 v110, 0x3f5db3d7, v132
	v_dual_fmac_f32 v111, 0xbf5db3d7, v133 :: v_dual_fmamk_f32 v124, v137, 0xbf5db3d7, v112
	v_dual_fmamk_f32 v125, v128, 0x3f5db3d7, v113 :: v_dual_fmac_f32 v112, 0x3f5db3d7, v137
	v_dual_fmac_f32 v113, 0xbf5db3d7, v128 :: v_dual_add_f32 v120, v120, v126
	v_fmamk_f32 v126, v129, 0xbf5db3d7, v114
	v_dual_fmamk_f32 v127, v134, 0x3f5db3d7, v115 :: v_dual_fmac_f32 v114, 0x3f5db3d7, v129
	v_fmac_f32_e32 v115, 0xbf5db3d7, v134
	ds_store_2addr_b64 v93, v[116:117], v[122:123] offset1:1
	ds_store_b64 v93, v[110:111] offset:16
	ds_store_2addr_b64 v96, v[118:119], v[124:125] offset1:1
	ds_store_b64 v96, v[112:113] offset:16
	;; [unrolled: 2-line block ×3, first 2 shown]
	global_wb scope:SCOPE_SE
	s_wait_dscnt 0x0
	s_barrier_signal -1
	s_barrier_wait -1
	global_inv scope:SCOPE_SE
	ds_load_b64 v[95:96], v88 offset:15552
	ds_load_2addr_b64 v[110:113], v89 offset0:12 offset1:255
	ds_load_2addr_b64 v[114:117], v90 offset0:2 offset1:245
	;; [unrolled: 1-line block ×3, first 2 shown]
	ds_load_2addr_b64 v[122:125], v88 offset1:243
	global_wb scope:SCOPE_SE
	s_wait_dscnt 0x0
	s_barrier_signal -1
	s_barrier_wait -1
	global_inv scope:SCOPE_SE
	v_mul_f32_e32 v93, v15, v96
	v_mul_f32_e32 v127, v5, v111
	;; [unrolled: 1-line block ×3, first 2 shown]
	v_dual_mul_f32 v3, v3, v114 :: v_dual_mul_f32 v130, v1, v121
	v_mul_f32_e32 v1, v1, v120
	v_dual_mul_f32 v5, v5, v110 :: v_dual_mul_f32 v128, v7, v117
	v_mul_f32_e32 v7, v7, v116
	v_dual_mul_f32 v15, v15, v95 :: v_dual_mul_f32 v126, v13, v113
	v_mul_f32_e32 v13, v13, v112
	v_fma_f32 v1, v0, v121, -v1
	v_fma_f32 v3, v2, v115, -v3
	v_dual_fmac_f32 v130, v0, v120 :: v_dual_fmac_f32 v129, v2, v114
	v_fmac_f32_e32 v127, v4, v110
	v_fma_f32 v4, v4, v111, -v5
	v_fmac_f32_e32 v128, v6, v116
	v_fma_f32 v5, v6, v117, -v7
	;; [unrolled: 2-line block ×4, first 2 shown]
	v_add_f32_e32 v0, v123, v1
	v_add_f32_e32 v6, v1, v3
	;; [unrolled: 1-line block ×4, first 2 shown]
	v_dual_add_f32 v110, v4, v5 :: v_dual_add_f32 v111, v127, v128
	v_dual_add_f32 v113, v119, v12 :: v_dual_sub_f32 v114, v12, v14
	v_add_f32_e32 v12, v12, v14
	v_dual_add_f32 v116, v126, v93 :: v_dual_sub_f32 v15, v1, v3
	v_sub_f32_e32 v95, v130, v129
	v_add_f32_e32 v13, v125, v4
	v_dual_add_f32 v1, v0, v3 :: v_dual_add_f32 v0, v2, v129
	v_fma_f32 v2, -0.5, v7, v122
	v_fma_f32 v3, -0.5, v6, v123
	v_sub_f32_e32 v96, v4, v5
	v_add_f32_e32 v4, v124, v127
	v_sub_f32_e32 v112, v127, v128
	v_fma_f32 v124, -0.5, v111, v124
	v_fmac_f32_e32 v125, -0.5, v110
	v_add_f32_e32 v115, v118, v126
	v_sub_f32_e32 v117, v126, v93
	v_fma_f32 v118, -0.5, v116, v118
	v_fmac_f32_e32 v119, -0.5, v12
	v_dual_add_f32 v5, v13, v5 :: v_dual_fmamk_f32 v12, v15, 0xbf5db3d7, v2
	v_dual_fmamk_f32 v13, v95, 0x3f5db3d7, v3 :: v_dual_fmac_f32 v2, 0x3f5db3d7, v15
	v_dual_fmac_f32 v3, 0xbf5db3d7, v95 :: v_dual_add_f32 v4, v4, v128
	v_dual_add_f32 v7, v113, v14 :: v_dual_fmamk_f32 v14, v96, 0xbf5db3d7, v124
	v_dual_fmamk_f32 v15, v112, 0x3f5db3d7, v125 :: v_dual_fmac_f32 v124, 0x3f5db3d7, v96
	v_dual_fmac_f32 v125, 0xbf5db3d7, v112 :: v_dual_add_f32 v6, v115, v93
	v_fmamk_f32 v95, v114, 0xbf5db3d7, v118
	v_fmamk_f32 v96, v117, 0x3f5db3d7, v119
	v_fmac_f32_e32 v118, 0x3f5db3d7, v114
	v_fmac_f32_e32 v119, 0xbf5db3d7, v117
	ds_store_2addr_b64 v94, v[0:1], v[12:13] offset1:3
	ds_store_b64 v94, v[2:3] offset:48
	ds_store_2addr_b64 v98, v[4:5], v[14:15] offset1:3
	ds_store_b64 v98, v[124:125] offset:48
	;; [unrolled: 2-line block ×3, first 2 shown]
	global_wb scope:SCOPE_SE
	s_wait_dscnt 0x0
	s_barrier_signal -1
	s_barrier_wait -1
	global_inv scope:SCOPE_SE
	ds_load_b64 v[97:98], v88 offset:15552
	ds_load_2addr_b64 v[0:3], v89 offset0:12 offset1:255
	ds_load_2addr_b64 v[4:7], v90 offset0:2 offset1:245
	;; [unrolled: 1-line block ×3, first 2 shown]
	ds_load_2addr_b64 v[93:96], v88 offset1:243
	global_wb scope:SCOPE_SE
	s_wait_dscnt 0x0
	s_barrier_signal -1
	s_barrier_wait -1
	global_inv scope:SCOPE_SE
	v_dual_mul_f32 v110, v23, v98 :: v_dual_mul_f32 v111, v21, v3
	v_mul_f32_e32 v21, v21, v2
	v_mul_f32_e32 v112, v17, v1
	;; [unrolled: 1-line block ×3, first 2 shown]
	v_dual_mul_f32 v114, v9, v14 :: v_dual_mul_f32 v115, v11, v4
	v_mul_f32_e32 v9, v9, v15
	v_mul_f32_e32 v11, v11, v5
	;; [unrolled: 1-line block ×5, first 2 shown]
	v_fmac_f32_e32 v111, v20, v2
	v_fma_f32 v2, v20, v3, -v21
	v_fmac_f32_e32 v112, v16, v0
	v_fma_f32 v0, v16, v1, -v17
	v_fma_f32 v1, v8, v15, -v114
	;; [unrolled: 1-line block ×3, first 2 shown]
	v_fmac_f32_e32 v9, v8, v14
	v_fmac_f32_e32 v11, v10, v4
	;; [unrolled: 1-line block ×3, first 2 shown]
	v_fma_f32 v5, v18, v7, -v19
	v_fmac_f32_e32 v110, v22, v97
	v_fma_f32 v22, v22, v98, -v23
	v_add_f32_e32 v4, v94, v1
	v_add_f32_e32 v6, v1, v3
	;; [unrolled: 1-line block ×4, first 2 shown]
	v_dual_sub_f32 v14, v9, v11 :: v_dual_add_f32 v9, v96, v0
	v_add_f32_e32 v16, v0, v5
	v_dual_add_f32 v18, v112, v113 :: v_dual_add_f32 v23, v2, v22
	v_add_f32_e32 v98, v111, v110
	v_dual_sub_f32 v10, v1, v3 :: v_dual_sub_f32 v15, v0, v5
	v_add_f32_e32 v1, v4, v3
	v_add_f32_e32 v3, v9, v5
	v_fma_f32 v4, -0.5, v8, v93
	v_fma_f32 v5, -0.5, v6, v94
	v_add_f32_e32 v17, v95, v112
	v_sub_f32_e32 v19, v112, v113
	v_fma_f32 v95, -0.5, v18, v95
	v_fmac_f32_e32 v96, -0.5, v16
	v_add_f32_e32 v20, v13, v2
	v_sub_f32_e32 v21, v2, v22
	v_add_f32_e32 v97, v12, v111
	v_sub_f32_e32 v111, v111, v110
	v_fma_f32 v12, -0.5, v98, v12
	v_fmac_f32_e32 v13, -0.5, v23
	v_add_f32_e32 v0, v7, v11
	v_fmamk_f32 v8, v10, 0xbf5db3d7, v4
	v_dual_fmamk_f32 v9, v14, 0x3f5db3d7, v5 :: v_dual_fmac_f32 v4, 0x3f5db3d7, v10
	v_dual_fmac_f32 v5, 0xbf5db3d7, v14 :: v_dual_add_f32 v2, v17, v113
	v_fmamk_f32 v10, v15, 0xbf5db3d7, v95
	v_fmamk_f32 v11, v19, 0x3f5db3d7, v96
	v_fmac_f32_e32 v95, 0x3f5db3d7, v15
	v_dual_fmac_f32 v96, 0xbf5db3d7, v19 :: v_dual_add_f32 v7, v20, v22
	v_add_f32_e32 v6, v97, v110
	v_fmamk_f32 v14, v21, 0xbf5db3d7, v12
	v_dual_fmac_f32 v12, 0x3f5db3d7, v21 :: v_dual_fmamk_f32 v15, v111, 0x3f5db3d7, v13
	v_fmac_f32_e32 v13, 0xbf5db3d7, v111
	ds_store_2addr_b64 v99, v[0:1], v[8:9] offset1:9
	ds_store_b64 v99, v[4:5] offset:144
	ds_store_2addr_b64 v101, v[2:3], v[10:11] offset1:9
	ds_store_b64 v101, v[95:96] offset:144
	;; [unrolled: 2-line block ×3, first 2 shown]
	global_wb scope:SCOPE_SE
	s_wait_dscnt 0x0
	s_barrier_signal -1
	s_barrier_wait -1
	global_inv scope:SCOPE_SE
	ds_load_2addr_b64 v[0:3], v91 offset0:6 offset1:249
	ds_load_2addr_b64 v[4:7], v90 offset0:2 offset1:245
	;; [unrolled: 1-line block ×3, first 2 shown]
	ds_load_b64 v[16:17], v88 offset:15552
	ds_load_2addr_b64 v[12:15], v88 offset1:243
	global_wb scope:SCOPE_SE
	s_wait_dscnt 0x0
	s_barrier_signal -1
	s_barrier_wait -1
	global_inv scope:SCOPE_SE
	v_mul_f32_e32 v18, v25, v3
	v_dual_mul_f32 v19, v25, v2 :: v_dual_mul_f32 v20, v27, v5
	v_mul_f32_e32 v21, v27, v4
	v_mul_f32_e32 v22, v31, v7
	;; [unrolled: 1-line block ×8, first 2 shown]
	v_dual_mul_f32 v35, v35, v16 :: v_dual_fmac_f32 v18, v24, v2
	v_fma_f32 v2, v24, v3, -v19
	v_fmac_f32_e32 v20, v26, v4
	v_fma_f32 v3, v26, v5, -v21
	v_fmac_f32_e32 v22, v30, v6
	;; [unrolled: 2-line block ×5, first 2 shown]
	v_fma_f32 v9, v34, v17, -v35
	v_dual_add_f32 v7, v12, v18 :: v_dual_add_f32 v8, v18, v20
	v_dual_add_f32 v16, v2, v3 :: v_dual_add_f32 v19, v25, v22
	v_add_f32_e32 v24, v4, v5
	v_add_f32_e32 v27, v29, v33
	;; [unrolled: 1-line block ×3, first 2 shown]
	v_dual_sub_f32 v11, v2, v3 :: v_dual_add_f32 v10, v13, v2
	v_sub_f32_e32 v17, v18, v20
	v_sub_f32_e32 v28, v6, v9
	v_add_f32_e32 v30, v1, v6
	v_add_f32_e32 v2, v7, v20
	v_fma_f32 v6, -0.5, v8, v12
	v_fma_f32 v7, -0.5, v16, v13
	v_dual_add_f32 v18, v14, v25 :: v_dual_add_f32 v21, v15, v4
	v_sub_f32_e32 v23, v4, v5
	v_sub_f32_e32 v25, v25, v22
	v_fma_f32 v14, -0.5, v19, v14
	v_dual_fmac_f32 v15, -0.5, v24 :: v_dual_add_f32 v26, v0, v29
	v_sub_f32_e32 v29, v29, v33
	v_fma_f32 v0, -0.5, v27, v0
	v_fmac_f32_e32 v1, -0.5, v31
	v_dual_add_f32 v3, v10, v3 :: v_dual_fmamk_f32 v10, v11, 0xbf5db3d7, v6
	v_dual_fmac_f32 v6, 0x3f5db3d7, v11 :: v_dual_fmamk_f32 v11, v17, 0x3f5db3d7, v7
	v_dual_fmac_f32 v7, 0xbf5db3d7, v17 :: v_dual_add_f32 v4, v18, v22
	v_dual_add_f32 v5, v21, v5 :: v_dual_fmamk_f32 v12, v23, 0xbf5db3d7, v14
	v_dual_fmamk_f32 v13, v25, 0x3f5db3d7, v15 :: v_dual_fmac_f32 v14, 0x3f5db3d7, v23
	v_fmac_f32_e32 v15, 0xbf5db3d7, v25
	v_add_f32_e32 v8, v26, v33
	v_dual_add_f32 v9, v30, v9 :: v_dual_fmamk_f32 v16, v28, 0xbf5db3d7, v0
	v_dual_fmac_f32 v0, 0x3f5db3d7, v28 :: v_dual_fmamk_f32 v17, v29, 0x3f5db3d7, v1
	v_fmac_f32_e32 v1, 0xbf5db3d7, v29
	ds_store_2addr_b64 v102, v[2:3], v[10:11] offset1:27
	ds_store_b64 v102, v[6:7] offset:432
	ds_store_2addr_b64 v104, v[4:5], v[12:13] offset1:27
	ds_store_b64 v104, v[14:15] offset:432
	;; [unrolled: 2-line block ×3, first 2 shown]
	global_wb scope:SCOPE_SE
	s_wait_dscnt 0x0
	s_barrier_signal -1
	s_barrier_wait -1
	global_inv scope:SCOPE_SE
	ds_load_2addr_b64 v[0:3], v91 offset0:6 offset1:249
	ds_load_2addr_b64 v[4:7], v90 offset0:2 offset1:245
	;; [unrolled: 1-line block ×3, first 2 shown]
	ds_load_b64 v[16:17], v88 offset:15552
	ds_load_2addr_b64 v[12:15], v88 offset1:243
	global_wb scope:SCOPE_SE
	s_wait_dscnt 0x0
	s_barrier_signal -1
	s_barrier_wait -1
	global_inv scope:SCOPE_SE
	v_mul_f32_e32 v18, v37, v3
	v_dual_mul_f32 v19, v37, v2 :: v_dual_mul_f32 v20, v39, v5
	v_dual_mul_f32 v21, v39, v4 :: v_dual_mul_f32 v22, v41, v9
	;; [unrolled: 1-line block ×5, first 2 shown]
	v_dual_mul_f32 v29, v47, v16 :: v_dual_fmac_f32 v18, v36, v2
	v_fma_f32 v2, v36, v3, -v19
	v_fmac_f32_e32 v20, v38, v4
	v_fma_f32 v3, v38, v5, -v21
	v_fmac_f32_e32 v22, v40, v8
	;; [unrolled: 2-line block ×5, first 2 shown]
	v_fma_f32 v9, v46, v17, -v29
	v_add_f32_e32 v8, v18, v20
	v_add_f32_e32 v16, v2, v3
	;; [unrolled: 1-line block ×4, first 2 shown]
	v_dual_add_f32 v29, v26, v28 :: v_dual_add_f32 v32, v5, v9
	v_dual_add_f32 v6, v12, v18 :: v_dual_sub_f32 v11, v2, v3
	v_dual_add_f32 v10, v13, v2 :: v_dual_sub_f32 v17, v18, v20
	v_sub_f32_e32 v21, v4, v7
	v_dual_add_f32 v23, v15, v4 :: v_dual_sub_f32 v30, v5, v9
	v_add_f32_e32 v31, v1, v5
	v_fma_f32 v4, -0.5, v8, v12
	v_fma_f32 v5, -0.5, v16, v13
	v_add_f32_e32 v18, v14, v22
	v_sub_f32_e32 v22, v22, v24
	v_fma_f32 v14, -0.5, v19, v14
	v_fmac_f32_e32 v15, -0.5, v25
	v_dual_add_f32 v27, v0, v26 :: v_dual_sub_f32 v26, v26, v28
	v_fma_f32 v0, -0.5, v29, v0
	v_fmac_f32_e32 v1, -0.5, v32
	v_add_f32_e32 v2, v6, v20
	v_dual_add_f32 v3, v10, v3 :: v_dual_fmamk_f32 v10, v11, 0xbf5db3d7, v4
	v_dual_fmac_f32 v4, 0x3f5db3d7, v11 :: v_dual_fmamk_f32 v11, v17, 0x3f5db3d7, v5
	v_dual_fmac_f32 v5, 0xbf5db3d7, v17 :: v_dual_add_f32 v6, v18, v24
	v_dual_add_f32 v7, v23, v7 :: v_dual_fmamk_f32 v12, v21, 0xbf5db3d7, v14
	v_dual_fmamk_f32 v13, v22, 0x3f5db3d7, v15 :: v_dual_fmac_f32 v14, 0x3f5db3d7, v21
	v_dual_fmac_f32 v15, 0xbf5db3d7, v22 :: v_dual_add_f32 v8, v27, v28
	v_dual_add_f32 v9, v31, v9 :: v_dual_fmamk_f32 v16, v30, 0xbf5db3d7, v0
	v_dual_fmac_f32 v0, 0x3f5db3d7, v30 :: v_dual_fmamk_f32 v17, v26, 0x3f5db3d7, v1
	v_fmac_f32_e32 v1, 0xbf5db3d7, v26
	ds_store_2addr_b64 v108, v[2:3], v[10:11] offset1:81
	ds_store_b64 v108, v[4:5] offset:1296
	ds_store_2addr_b64 v107, v[6:7], v[12:13] offset1:81
	ds_store_b64 v107, v[14:15] offset:1296
	;; [unrolled: 2-line block ×3, first 2 shown]
	global_wb scope:SCOPE_SE
	s_wait_dscnt 0x0
	s_barrier_signal -1
	s_barrier_wait -1
	global_inv scope:SCOPE_SE
	ds_load_2addr_b64 v[0:3], v91 offset0:6 offset1:249
	ds_load_2addr_b64 v[4:7], v90 offset0:2 offset1:245
	;; [unrolled: 1-line block ×3, first 2 shown]
	ds_load_b64 v[16:17], v88 offset:15552
	ds_load_2addr_b64 v[12:15], v88 offset1:243
	global_wb scope:SCOPE_SE
	s_wait_dscnt 0x0
	s_barrier_signal -1
	s_barrier_wait -1
	global_inv scope:SCOPE_SE
	v_mul_f32_e32 v18, v61, v3
	v_dual_mul_f32 v19, v61, v2 :: v_dual_mul_f32 v20, v63, v5
	v_dual_mul_f32 v21, v63, v4 :: v_dual_mul_f32 v22, v61, v9
	;; [unrolled: 1-line block ×5, first 2 shown]
	v_dual_mul_f32 v29, v67, v16 :: v_dual_fmac_f32 v18, v60, v2
	v_fma_f32 v2, v60, v3, -v19
	v_fmac_f32_e32 v20, v62, v4
	v_fma_f32 v3, v62, v5, -v21
	v_fmac_f32_e32 v22, v60, v8
	;; [unrolled: 2-line block ×5, first 2 shown]
	v_fma_f32 v9, v66, v17, -v29
	v_add_f32_e32 v8, v18, v20
	v_add_f32_e32 v16, v2, v3
	v_add_f32_e32 v19, v22, v24
	v_add_f32_e32 v25, v4, v7
	v_dual_add_f32 v29, v26, v28 :: v_dual_add_f32 v32, v5, v9
	v_dual_add_f32 v6, v12, v18 :: v_dual_sub_f32 v11, v2, v3
	v_dual_add_f32 v10, v13, v2 :: v_dual_sub_f32 v17, v18, v20
	v_sub_f32_e32 v21, v4, v7
	v_dual_add_f32 v23, v15, v4 :: v_dual_sub_f32 v30, v5, v9
	v_add_f32_e32 v31, v1, v5
	v_fma_f32 v4, -0.5, v8, v12
	v_fma_f32 v5, -0.5, v16, v13
	v_add_f32_e32 v18, v14, v22
	v_sub_f32_e32 v22, v22, v24
	v_fma_f32 v14, -0.5, v19, v14
	v_fmac_f32_e32 v15, -0.5, v25
	v_dual_add_f32 v27, v0, v26 :: v_dual_sub_f32 v26, v26, v28
	v_fma_f32 v0, -0.5, v29, v0
	v_fmac_f32_e32 v1, -0.5, v32
	v_add_f32_e32 v2, v6, v20
	v_dual_add_f32 v3, v10, v3 :: v_dual_fmamk_f32 v10, v11, 0xbf5db3d7, v4
	v_dual_fmac_f32 v4, 0x3f5db3d7, v11 :: v_dual_fmamk_f32 v11, v17, 0x3f5db3d7, v5
	v_dual_add_f32 v6, v18, v24 :: v_dual_add_f32 v7, v23, v7
	v_dual_fmac_f32 v5, 0xbf5db3d7, v17 :: v_dual_fmamk_f32 v12, v21, 0xbf5db3d7, v14
	v_dual_fmac_f32 v14, 0x3f5db3d7, v21 :: v_dual_fmamk_f32 v13, v22, 0x3f5db3d7, v15
	v_dual_fmac_f32 v15, 0xbf5db3d7, v22 :: v_dual_add_f32 v8, v27, v28
	v_dual_add_f32 v9, v31, v9 :: v_dual_fmamk_f32 v16, v30, 0xbf5db3d7, v0
	v_dual_fmamk_f32 v17, v26, 0x3f5db3d7, v1 :: v_dual_fmac_f32 v0, 0x3f5db3d7, v30
	v_fmac_f32_e32 v1, 0xbf5db3d7, v26
	ds_store_2addr_b64 v88, v[2:3], v[10:11] offset1:243
	ds_store_2addr_b64 v91, v[4:5], v[6:7] offset0:6 offset1:249
	ds_store_2addr_b64 v89, v[12:13], v[14:15] offset0:12 offset1:255
	ds_store_2addr_b64 v109, v[8:9], v[16:17] offset0:2 offset1:245
	ds_store_b64 v105, v[0:1] offset:15552
	global_wb scope:SCOPE_SE
	s_wait_dscnt 0x0
	s_barrier_signal -1
	s_barrier_wait -1
	global_inv scope:SCOPE_SE
	ds_load_2addr_b64 v[0:3], v91 offset0:6 offset1:249
	ds_load_2addr_b64 v[4:7], v90 offset0:2 offset1:245
	;; [unrolled: 1-line block ×3, first 2 shown]
	ds_load_b64 v[16:17], v88 offset:15552
	ds_load_2addr_b64 v[12:15], v88 offset1:243
	s_wait_dscnt 0x4
	v_mul_f32_e32 v18, v49, v3
	s_wait_dscnt 0x3
	v_dual_mul_f32 v19, v49, v2 :: v_dual_mul_f32 v20, v51, v5
	s_wait_dscnt 0x2
	v_dual_mul_f32 v21, v51, v4 :: v_dual_mul_f32 v22, v53, v9
	v_dual_mul_f32 v23, v53, v8 :: v_dual_mul_f32 v24, v55, v7
	;; [unrolled: 1-line block ×3, first 2 shown]
	s_wait_dscnt 0x1
	v_dual_mul_f32 v27, v57, v10 :: v_dual_mul_f32 v28, v59, v17
	v_dual_mul_f32 v29, v59, v16 :: v_dual_fmac_f32 v18, v48, v2
	v_fma_f32 v2, v48, v3, -v19
	v_fmac_f32_e32 v20, v50, v4
	v_fma_f32 v3, v50, v5, -v21
	v_fmac_f32_e32 v22, v52, v8
	;; [unrolled: 2-line block ×5, first 2 shown]
	v_fma_f32 v9, v58, v17, -v29
	v_add_f32_e32 v8, v18, v20
	v_add_f32_e32 v16, v2, v3
	;; [unrolled: 1-line block ×4, first 2 shown]
	v_dual_add_f32 v29, v26, v28 :: v_dual_add_f32 v32, v5, v9
	s_wait_dscnt 0x0
	v_dual_sub_f32 v11, v2, v3 :: v_dual_add_f32 v10, v13, v2
	v_sub_f32_e32 v17, v18, v20
	v_sub_f32_e32 v21, v4, v7
	v_dual_add_f32 v23, v15, v4 :: v_dual_sub_f32 v30, v5, v9
	v_add_f32_e32 v31, v1, v5
	v_fma_f32 v4, -0.5, v8, v12
	v_fma_f32 v5, -0.5, v16, v13
	v_add_f32_e32 v6, v12, v18
	v_add_f32_e32 v18, v14, v22
	v_dual_add_f32 v27, v0, v26 :: v_dual_sub_f32 v22, v22, v24
	v_sub_f32_e32 v26, v26, v28
	v_fma_f32 v14, -0.5, v19, v14
	v_fmac_f32_e32 v15, -0.5, v25
	v_fma_f32 v0, -0.5, v29, v0
	v_fmac_f32_e32 v1, -0.5, v32
	v_dual_add_f32 v3, v10, v3 :: v_dual_fmamk_f32 v10, v11, 0xbf5db3d7, v4
	v_dual_fmac_f32 v4, 0x3f5db3d7, v11 :: v_dual_fmamk_f32 v11, v17, 0x3f5db3d7, v5
	v_dual_fmac_f32 v5, 0xbf5db3d7, v17 :: v_dual_add_f32 v2, v6, v20
	v_dual_add_f32 v6, v18, v24 :: v_dual_add_f32 v7, v23, v7
	v_add_f32_e32 v8, v27, v28
	v_dual_add_f32 v9, v31, v9 :: v_dual_fmamk_f32 v12, v21, 0xbf5db3d7, v14
	v_fmamk_f32 v13, v22, 0x3f5db3d7, v15
	v_fmamk_f32 v16, v30, 0xbf5db3d7, v0
	v_dual_fmac_f32 v0, 0x3f5db3d7, v30 :: v_dual_fmamk_f32 v17, v26, 0x3f5db3d7, v1
	v_fmac_f32_e32 v1, 0xbf5db3d7, v26
	v_fmac_f32_e32 v14, 0x3f5db3d7, v21
	;; [unrolled: 1-line block ×3, first 2 shown]
	ds_store_b64 v88, v[10:11] offset:5832
	ds_store_b64 v88, v[4:5] offset:11664
	ds_store_2addr_b64 v88, v[2:3], v[6:7] offset1:243
	ds_store_b64 v88, v[8:9] offset:3888
	ds_store_2addr_b64 v89, v[12:13], v[16:17] offset0:12 offset1:255
	ds_store_2addr_b64 v92, v[14:15], v[0:1] offset0:5 offset1:248
	global_wb scope:SCOPE_SE
	s_wait_dscnt 0x0
	s_barrier_signal -1
	s_barrier_wait -1
	global_inv scope:SCOPE_SE
	ds_load_2addr_b64 v[0:3], v88 offset1:243
	ds_load_2addr_b64 v[4:7], v91 offset0:6 offset1:249
	ds_load_b64 v[20:21], v88 offset:15552
	ds_load_2addr_b64 v[8:11], v90 offset0:2 offset1:245
	ds_load_2addr_b64 v[12:15], v89 offset0:12 offset1:255
	v_mad_co_u64_u32 v[16:17], null, s6, v68, 0
	v_mad_co_u64_u32 v[18:19], null, s4, v87, 0
	s_delay_alu instid0(VALU_DEP_1)
	v_mad_co_u64_u32 v[22:23], null, s7, v68, v[17:18]
	s_wait_dscnt 0x4
	v_mul_f32_e32 v17, v70, v1
	s_wait_dscnt 0x3
	v_mul_f32_e32 v25, v72, v6
	s_wait_dscnt 0x2
	s_delay_alu instid0(VALU_DEP_4)
	v_mad_co_u64_u32 v[23:24], null, s5, v87, v[19:20]
	v_dual_mul_f32 v19, v70, v0 :: v_dual_mul_f32 v24, v72, v7
	s_wait_dscnt 0x1
	v_mul_f32_e32 v26, v74, v9
	v_mul_f32_e32 v27, v74, v8
	;; [unrolled: 1-line block ×3, first 2 shown]
	s_wait_dscnt 0x0
	v_dual_mul_f32 v29, v78, v2 :: v_dual_mul_f32 v30, v80, v13
	v_mul_f32_e32 v31, v80, v12
	v_mul_f32_e32 v32, v76, v11
	;; [unrolled: 1-line block ×3, first 2 shown]
	v_fmac_f32_e32 v17, v69, v0
	v_fma_f32 v19, v69, v1, -v19
	v_mul_f32_e32 v34, v82, v5
	v_dual_mul_f32 v35, v82, v4 :: v_dual_fmac_f32 v24, v71, v6
	v_fma_f32 v6, v71, v7, -v25
	v_mul_f32_e32 v36, v84, v15
	s_delay_alu instid0(VALU_DEP_4)
	v_dual_fmac_f32 v34, v81, v4 :: v_dual_mul_f32 v37, v84, v14
	v_fmac_f32_e32 v26, v73, v8
	v_fma_f32 v25, v73, v9, -v27
	v_mul_f32_e32 v38, v86, v21
	v_dual_mul_f32 v39, v86, v20 :: v_dual_fmac_f32 v28, v77, v2
	v_fma_f32 v27, v77, v3, -v29
	v_fmac_f32_e32 v30, v79, v12
	v_fma_f32 v29, v79, v13, -v31
	v_fmac_f32_e32 v32, v75, v10
	v_fma_f32 v31, v75, v11, -v33
	v_cvt_f64_f32_e32 v[0:1], v17
	v_cvt_f64_f32_e32 v[2:3], v19
	v_fma_f32 v33, v81, v5, -v35
	v_cvt_f64_f32_e32 v[4:5], v24
	v_cvt_f64_f32_e32 v[6:7], v6
	v_fmac_f32_e32 v36, v83, v14
	v_fma_f32 v37, v83, v15, -v37
	v_cvt_f64_f32_e32 v[8:9], v26
	v_cvt_f64_f32_e32 v[10:11], v25
	v_fmac_f32_e32 v38, v85, v20
	v_fma_f32 v40, v85, v21, -v39
	v_cvt_f64_f32_e32 v[12:13], v28
	v_cvt_f64_f32_e32 v[14:15], v27
	;; [unrolled: 1-line block ×12, first 2 shown]
	v_mov_b32_e32 v17, v22
	v_mov_b32_e32 v19, v23
	s_delay_alu instid0(VALU_DEP_2) | instskip(NEXT) | instid1(VALU_DEP_2)
	v_lshlrev_b64_e32 v[16:17], 3, v[16:17]
	v_lshlrev_b64_e32 v[18:19], 3, v[18:19]
	s_delay_alu instid0(VALU_DEP_2) | instskip(SKIP_1) | instid1(VALU_DEP_3)
	v_add_co_u32 v16, vcc_lo, s0, v16
	s_wait_alu 0xfffd
	v_add_co_ci_u32_e32 v17, vcc_lo, s1, v17, vcc_lo
	s_wait_alu 0xfffe
	v_mul_f64_e32 v[0:1], s[2:3], v[0:1]
	v_mul_f64_e32 v[2:3], s[2:3], v[2:3]
	v_add_co_u32 v16, vcc_lo, v16, v18
	v_mul_f64_e32 v[4:5], s[2:3], v[4:5]
	v_mul_f64_e32 v[6:7], s[2:3], v[6:7]
	s_wait_alu 0xfffd
	v_add_co_ci_u32_e32 v17, vcc_lo, v17, v19, vcc_lo
	v_mul_f64_e32 v[8:9], s[2:3], v[8:9]
	v_mul_f64_e32 v[10:11], s[2:3], v[10:11]
	s_mul_u64 s[0:1], s[4:5], 0x16c8
	v_mul_f64_e32 v[12:13], s[2:3], v[12:13]
	v_mul_f64_e32 v[14:15], s[2:3], v[14:15]
	;; [unrolled: 1-line block ×12, first 2 shown]
	s_wait_alu 0xfffe
	v_add_co_u32 v38, vcc_lo, v16, s0
	s_wait_alu 0xfffd
	v_add_co_ci_u32_e32 v39, vcc_lo, s1, v17, vcc_lo
	s_mul_i32 s2, s5, 0xffffda08
	s_delay_alu instid0(VALU_DEP_2) | instskip(SKIP_1) | instid1(VALU_DEP_2)
	v_add_co_u32 v40, vcc_lo, v38, s0
	s_wait_alu 0xfffd
	v_add_co_ci_u32_e32 v41, vcc_lo, s1, v39, vcc_lo
	s_wait_alu 0xfffe
	s_sub_co_i32 s2, s2, s4
	s_delay_alu instid0(VALU_DEP_1)
	v_mad_co_u64_u32 v[42:43], null, 0xffffda08, s4, v[40:41]
	v_cvt_f32_f64_e32 v0, v[0:1]
	v_cvt_f32_f64_e32 v1, v[2:3]
	;; [unrolled: 1-line block ×4, first 2 shown]
	s_wait_alu 0xfffe
	v_add_nc_u32_e32 v43, s2, v43
	v_cvt_f32_f64_e32 v4, v[8:9]
	v_cvt_f32_f64_e32 v5, v[10:11]
	;; [unrolled: 1-line block ×14, first 2 shown]
	v_add_co_u32 v20, vcc_lo, v42, s0
	s_wait_alu 0xfffd
	v_add_co_ci_u32_e32 v21, vcc_lo, s1, v43, vcc_lo
	s_delay_alu instid0(VALU_DEP_2) | instskip(SKIP_1) | instid1(VALU_DEP_2)
	v_add_co_u32 v22, vcc_lo, v20, s0
	s_wait_alu 0xfffd
	v_add_co_ci_u32_e32 v23, vcc_lo, s1, v21, vcc_lo
	s_delay_alu instid0(VALU_DEP_1) | instskip(NEXT) | instid1(VALU_DEP_1)
	v_mad_co_u64_u32 v[24:25], null, 0xffffda08, s4, v[22:23]
	v_add_nc_u32_e32 v25, s2, v25
	s_delay_alu instid0(VALU_DEP_2) | instskip(SKIP_1) | instid1(VALU_DEP_2)
	v_add_co_u32 v26, vcc_lo, v24, s0
	s_wait_alu 0xfffd
	v_add_co_ci_u32_e32 v27, vcc_lo, s1, v25, vcc_lo
	s_delay_alu instid0(VALU_DEP_2) | instskip(SKIP_1) | instid1(VALU_DEP_2)
	v_add_co_u32 v28, vcc_lo, v26, s0
	s_wait_alu 0xfffd
	v_add_co_ci_u32_e32 v29, vcc_lo, s1, v27, vcc_lo
	s_clause 0x4
	global_store_b64 v[16:17], v[0:1], off
	global_store_b64 v[38:39], v[2:3], off
	;; [unrolled: 1-line block ×9, first 2 shown]
.LBB0_2:
	s_nop 0
	s_sendmsg sendmsg(MSG_DEALLOC_VGPRS)
	s_endpgm
	.section	.rodata,"a",@progbits
	.p2align	6, 0x0
	.amdhsa_kernel bluestein_single_back_len2187_dim1_sp_op_CI_CI
		.amdhsa_group_segment_fixed_size 17496
		.amdhsa_private_segment_fixed_size 0
		.amdhsa_kernarg_size 104
		.amdhsa_user_sgpr_count 2
		.amdhsa_user_sgpr_dispatch_ptr 0
		.amdhsa_user_sgpr_queue_ptr 0
		.amdhsa_user_sgpr_kernarg_segment_ptr 1
		.amdhsa_user_sgpr_dispatch_id 0
		.amdhsa_user_sgpr_private_segment_size 0
		.amdhsa_wavefront_size32 1
		.amdhsa_uses_dynamic_stack 0
		.amdhsa_enable_private_segment 0
		.amdhsa_system_sgpr_workgroup_id_x 1
		.amdhsa_system_sgpr_workgroup_id_y 0
		.amdhsa_system_sgpr_workgroup_id_z 0
		.amdhsa_system_sgpr_workgroup_info 0
		.amdhsa_system_vgpr_workitem_id 0
		.amdhsa_next_free_vgpr 139
		.amdhsa_next_free_sgpr 20
		.amdhsa_reserve_vcc 1
		.amdhsa_float_round_mode_32 0
		.amdhsa_float_round_mode_16_64 0
		.amdhsa_float_denorm_mode_32 3
		.amdhsa_float_denorm_mode_16_64 3
		.amdhsa_fp16_overflow 0
		.amdhsa_workgroup_processor_mode 1
		.amdhsa_memory_ordered 1
		.amdhsa_forward_progress 0
		.amdhsa_round_robin_scheduling 0
		.amdhsa_exception_fp_ieee_invalid_op 0
		.amdhsa_exception_fp_denorm_src 0
		.amdhsa_exception_fp_ieee_div_zero 0
		.amdhsa_exception_fp_ieee_overflow 0
		.amdhsa_exception_fp_ieee_underflow 0
		.amdhsa_exception_fp_ieee_inexact 0
		.amdhsa_exception_int_div_zero 0
	.end_amdhsa_kernel
	.text
.Lfunc_end0:
	.size	bluestein_single_back_len2187_dim1_sp_op_CI_CI, .Lfunc_end0-bluestein_single_back_len2187_dim1_sp_op_CI_CI
                                        ; -- End function
	.section	.AMDGPU.csdata,"",@progbits
; Kernel info:
; codeLenInByte = 10748
; NumSgprs: 22
; NumVgprs: 139
; ScratchSize: 0
; MemoryBound: 0
; FloatMode: 240
; IeeeMode: 1
; LDSByteSize: 17496 bytes/workgroup (compile time only)
; SGPRBlocks: 2
; VGPRBlocks: 17
; NumSGPRsForWavesPerEU: 22
; NumVGPRsForWavesPerEU: 139
; Occupancy: 10
; WaveLimiterHint : 1
; COMPUTE_PGM_RSRC2:SCRATCH_EN: 0
; COMPUTE_PGM_RSRC2:USER_SGPR: 2
; COMPUTE_PGM_RSRC2:TRAP_HANDLER: 0
; COMPUTE_PGM_RSRC2:TGID_X_EN: 1
; COMPUTE_PGM_RSRC2:TGID_Y_EN: 0
; COMPUTE_PGM_RSRC2:TGID_Z_EN: 0
; COMPUTE_PGM_RSRC2:TIDIG_COMP_CNT: 0
	.text
	.p2alignl 7, 3214868480
	.fill 96, 4, 3214868480
	.type	__hip_cuid_bce5061f9417bc0c,@object ; @__hip_cuid_bce5061f9417bc0c
	.section	.bss,"aw",@nobits
	.globl	__hip_cuid_bce5061f9417bc0c
__hip_cuid_bce5061f9417bc0c:
	.byte	0                               ; 0x0
	.size	__hip_cuid_bce5061f9417bc0c, 1

	.ident	"AMD clang version 19.0.0git (https://github.com/RadeonOpenCompute/llvm-project roc-6.4.0 25133 c7fe45cf4b819c5991fe208aaa96edf142730f1d)"
	.section	".note.GNU-stack","",@progbits
	.addrsig
	.addrsig_sym __hip_cuid_bce5061f9417bc0c
	.amdgpu_metadata
---
amdhsa.kernels:
  - .args:
      - .actual_access:  read_only
        .address_space:  global
        .offset:         0
        .size:           8
        .value_kind:     global_buffer
      - .actual_access:  read_only
        .address_space:  global
        .offset:         8
        .size:           8
        .value_kind:     global_buffer
      - .actual_access:  read_only
        .address_space:  global
        .offset:         16
        .size:           8
        .value_kind:     global_buffer
      - .actual_access:  read_only
        .address_space:  global
        .offset:         24
        .size:           8
        .value_kind:     global_buffer
      - .actual_access:  read_only
        .address_space:  global
        .offset:         32
        .size:           8
        .value_kind:     global_buffer
      - .offset:         40
        .size:           8
        .value_kind:     by_value
      - .address_space:  global
        .offset:         48
        .size:           8
        .value_kind:     global_buffer
      - .address_space:  global
        .offset:         56
        .size:           8
        .value_kind:     global_buffer
      - .address_space:  global
        .offset:         64
        .size:           8
        .value_kind:     global_buffer
      - .address_space:  global
        .offset:         72
        .size:           8
        .value_kind:     global_buffer
      - .offset:         80
        .size:           4
        .value_kind:     by_value
      - .address_space:  global
        .offset:         88
        .size:           8
        .value_kind:     global_buffer
      - .address_space:  global
        .offset:         96
        .size:           8
        .value_kind:     global_buffer
    .group_segment_fixed_size: 17496
    .kernarg_segment_align: 8
    .kernarg_segment_size: 104
    .language:       OpenCL C
    .language_version:
      - 2
      - 0
    .max_flat_workgroup_size: 243
    .name:           bluestein_single_back_len2187_dim1_sp_op_CI_CI
    .private_segment_fixed_size: 0
    .sgpr_count:     22
    .sgpr_spill_count: 0
    .symbol:         bluestein_single_back_len2187_dim1_sp_op_CI_CI.kd
    .uniform_work_group_size: 1
    .uses_dynamic_stack: false
    .vgpr_count:     139
    .vgpr_spill_count: 0
    .wavefront_size: 32
    .workgroup_processor_mode: 1
amdhsa.target:   amdgcn-amd-amdhsa--gfx1201
amdhsa.version:
  - 1
  - 2
...

	.end_amdgpu_metadata
